;; amdgpu-corpus repo=ROCm/rocFFT kind=compiled arch=gfx1201 opt=O3
	.text
	.amdgcn_target "amdgcn-amd-amdhsa--gfx1201"
	.amdhsa_code_object_version 6
	.protected	fft_rtc_back_len125_factors_5_5_5_wgs_160_tpt_5_dim3_sp_op_CI_CI_sbcc_twdbase8_3step_dirReg_intrinsicReadWrite ; -- Begin function fft_rtc_back_len125_factors_5_5_5_wgs_160_tpt_5_dim3_sp_op_CI_CI_sbcc_twdbase8_3step_dirReg_intrinsicReadWrite
	.globl	fft_rtc_back_len125_factors_5_5_5_wgs_160_tpt_5_dim3_sp_op_CI_CI_sbcc_twdbase8_3step_dirReg_intrinsicReadWrite
	.p2align	8
	.type	fft_rtc_back_len125_factors_5_5_5_wgs_160_tpt_5_dim3_sp_op_CI_CI_sbcc_twdbase8_3step_dirReg_intrinsicReadWrite,@function
fft_rtc_back_len125_factors_5_5_5_wgs_160_tpt_5_dim3_sp_op_CI_CI_sbcc_twdbase8_3step_dirReg_intrinsicReadWrite: ; @fft_rtc_back_len125_factors_5_5_5_wgs_160_tpt_5_dim3_sp_op_CI_CI_sbcc_twdbase8_3step_dirReg_intrinsicReadWrite
; %bb.0:
	s_load_b128 s[4:7], s[0:1], 0x10
	s_mov_b32 s14, ttmp9
	s_mov_b32 s15, 0
	s_mov_b64 s[20:21], 0
	s_wait_kmcnt 0x0
	s_load_b64 s[10:11], s[4:5], 0x8
	s_wait_kmcnt 0x0
	s_add_nc_u64 s[2:3], s[10:11], -1
	s_delay_alu instid0(SALU_CYCLE_1) | instskip(NEXT) | instid1(SALU_CYCLE_1)
	s_lshr_b64 s[2:3], s[2:3], 5
	s_add_nc_u64 s[16:17], s[2:3], 1
	s_delay_alu instid0(SALU_CYCLE_1) | instskip(NEXT) | instid1(VALU_DEP_1)
	v_cmp_lt_u64_e64 s2, s[14:15], s[16:17]
	s_and_b32 vcc_lo, exec_lo, s2
	s_cbranch_vccnz .LBB0_2
; %bb.1:
	v_cvt_f32_u32_e32 v1, s16
	s_sub_co_i32 s3, 0, s16
	s_mov_b32 s21, s15
	s_delay_alu instid0(VALU_DEP_1) | instskip(NEXT) | instid1(TRANS32_DEP_1)
	v_rcp_iflag_f32_e32 v1, v1
	v_mul_f32_e32 v1, 0x4f7ffffe, v1
	s_delay_alu instid0(VALU_DEP_1) | instskip(NEXT) | instid1(VALU_DEP_1)
	v_cvt_u32_f32_e32 v1, v1
	v_readfirstlane_b32 s2, v1
	s_delay_alu instid0(VALU_DEP_1) | instskip(NEXT) | instid1(SALU_CYCLE_1)
	s_mul_i32 s3, s3, s2
	s_mul_hi_u32 s3, s2, s3
	s_delay_alu instid0(SALU_CYCLE_1) | instskip(NEXT) | instid1(SALU_CYCLE_1)
	s_add_co_i32 s2, s2, s3
	s_mul_hi_u32 s2, s14, s2
	s_delay_alu instid0(SALU_CYCLE_1) | instskip(SKIP_2) | instid1(SALU_CYCLE_1)
	s_mul_i32 s3, s2, s16
	s_add_co_i32 s8, s2, 1
	s_sub_co_i32 s3, s14, s3
	s_sub_co_i32 s9, s3, s16
	s_cmp_ge_u32 s3, s16
	s_cselect_b32 s2, s8, s2
	s_cselect_b32 s3, s9, s3
	s_add_co_i32 s8, s2, 1
	s_cmp_ge_u32 s3, s16
	s_cselect_b32 s20, s8, s2
.LBB0_2:
	s_load_b64 s[12:13], s[4:5], 0x10
	s_load_b64 s[18:19], s[6:7], 0x8
	s_wait_kmcnt 0x0
	v_cmp_lt_u64_e64 s2, s[20:21], s[12:13]
	s_delay_alu instid0(VALU_DEP_1)
	s_and_b32 vcc_lo, exec_lo, s2
	s_mov_b64 s[2:3], s[20:21]
	s_cbranch_vccnz .LBB0_4
; %bb.3:
	v_cvt_f32_u32_e32 v1, s12
	s_sub_co_i32 s3, 0, s12
	s_delay_alu instid0(VALU_DEP_1) | instskip(NEXT) | instid1(TRANS32_DEP_1)
	v_rcp_iflag_f32_e32 v1, v1
	v_mul_f32_e32 v1, 0x4f7ffffe, v1
	s_delay_alu instid0(VALU_DEP_1) | instskip(NEXT) | instid1(VALU_DEP_1)
	v_cvt_u32_f32_e32 v1, v1
	v_readfirstlane_b32 s2, v1
	s_delay_alu instid0(VALU_DEP_1) | instskip(NEXT) | instid1(SALU_CYCLE_1)
	s_mul_i32 s3, s3, s2
	s_mul_hi_u32 s3, s2, s3
	s_delay_alu instid0(SALU_CYCLE_1) | instskip(NEXT) | instid1(SALU_CYCLE_1)
	s_add_co_i32 s2, s2, s3
	s_mul_hi_u32 s2, s20, s2
	s_delay_alu instid0(SALU_CYCLE_1) | instskip(NEXT) | instid1(SALU_CYCLE_1)
	s_mul_i32 s2, s2, s12
	s_sub_co_i32 s2, s20, s2
	s_delay_alu instid0(SALU_CYCLE_1)
	s_sub_co_i32 s3, s2, s12
	s_cmp_ge_u32 s2, s12
	s_cselect_b32 s2, s3, s2
	s_mov_b32 s3, 0
	s_sub_co_i32 s4, s2, s12
	s_cmp_ge_u32 s2, s12
	s_cselect_b32 s2, s4, s2
.LBB0_4:
	s_load_b64 s[4:5], s[0:1], 0x58
	s_clause 0x1
	s_load_b64 s[8:9], s[6:7], 0x0
	s_load_b64 s[22:23], s[6:7], 0x10
	s_mul_u64 s[24:25], s[12:13], s[16:17]
	s_mov_b64 s[12:13], 0
	s_wait_kmcnt 0x0
	v_cmp_lt_u64_e64 s9, s[14:15], s[24:25]
	s_delay_alu instid0(VALU_DEP_1)
	s_and_b32 vcc_lo, exec_lo, s9
	s_cbranch_vccnz .LBB0_6
; %bb.5:
	v_cvt_f32_u32_e32 v1, s24
	s_sub_co_i32 s12, 0, s24
	s_delay_alu instid0(VALU_DEP_1) | instskip(NEXT) | instid1(TRANS32_DEP_1)
	v_rcp_iflag_f32_e32 v1, v1
	v_mul_f32_e32 v1, 0x4f7ffffe, v1
	s_delay_alu instid0(VALU_DEP_1) | instskip(NEXT) | instid1(VALU_DEP_1)
	v_cvt_u32_f32_e32 v1, v1
	v_readfirstlane_b32 s9, v1
	s_wait_alu 0xfffe
	s_delay_alu instid0(VALU_DEP_1) | instskip(SKIP_4) | instid1(SALU_CYCLE_1)
	s_mul_i32 s12, s12, s9
	s_wait_alu 0xfffe
	s_mul_hi_u32 s12, s9, s12
	s_wait_alu 0xfffe
	s_add_co_i32 s9, s9, s12
	s_mul_hi_u32 s9, s14, s9
	s_delay_alu instid0(SALU_CYCLE_1)
	s_mul_i32 s12, s9, s24
	s_add_co_i32 s13, s9, 1
	s_wait_alu 0xfffe
	s_sub_co_i32 s12, s14, s12
	s_wait_alu 0xfffe
	s_sub_co_i32 s25, s12, s24
	s_cmp_ge_u32 s12, s24
	s_cselect_b32 s9, s13, s9
	s_wait_alu 0xfffe
	s_cselect_b32 s12, s25, s12
	s_add_co_i32 s25, s9, 1
	s_wait_alu 0xfffe
	s_cmp_ge_u32 s12, s24
	s_mov_b32 s13, 0
	s_cselect_b32 s12, s25, s9
.LBB0_6:
	v_and_b32_e32 v64, 31, v0
	s_load_b64 s[6:7], s[6:7], 0x18
	s_mul_u64 s[16:17], s[20:21], s[16:17]
	s_mul_u64 s[20:21], s[22:23], s[2:3]
	s_wait_alu 0xfffe
	s_sub_nc_u64 s[14:15], s[14:15], s[16:17]
	v_mad_co_u64_u32 v[24:25], null, s18, v64, 0
	s_wait_alu 0xfffe
	s_lshl_b64 s[14:15], s[14:15], 5
	v_mov_b32_e32 v12, 0
	s_wait_alu 0xfffe
	v_mov_b32_e32 v22, s15
	s_add_nc_u64 s[22:23], s[14:15], 32
	s_mul_u64 s[16:17], s[18:19], s[14:15]
	v_cmp_le_u64_e64 s3, s[22:23], s[10:11]
	v_mov_b32_e32 v1, v25
	v_or_b32_e32 v21, s14, v64
	v_lshrrev_b32_e32 v59, 5, v0
	s_wait_alu 0xfffe
	s_add_nc_u64 s[16:17], s[20:21], s[16:17]
	v_mad_co_u64_u32 v[1:2], null, s19, v64, v[1:2]
	v_mov_b32_e32 v1, 0
	v_cmp_gt_u64_e32 vcc_lo, s[10:11], v[21:22]
	v_mov_b32_e32 v2, 0
	s_wait_kmcnt 0x0
	s_mul_u64 s[6:7], s[6:7], s[12:13]
	s_wait_alu 0xfffe
	s_add_nc_u64 s[6:7], s[6:7], s[16:17]
	s_or_b32 s3, s3, vcc_lo
	s_delay_alu instid0(SALU_CYCLE_1)
	s_and_saveexec_b32 s7, s3
	s_cbranch_execz .LBB0_8
; %bb.7:
	v_mul_lo_u32 v1, s8, v59
	s_delay_alu instid0(VALU_DEP_1) | instskip(NEXT) | instid1(VALU_DEP_1)
	v_add3_u32 v11, s6, v24, v1
	v_lshlrev_b64_e32 v[1:2], 3, v[11:12]
	s_delay_alu instid0(VALU_DEP_1) | instskip(NEXT) | instid1(VALU_DEP_2)
	v_add_co_u32 v1, vcc_lo, s4, v1
	v_add_co_ci_u32_e32 v2, vcc_lo, s5, v2, vcc_lo
	global_load_b64 v[1:2], v[1:2], off
.LBB0_8:
	s_or_b32 exec_lo, exec_lo, s7
	v_mov_b32_e32 v11, 0
	s_and_saveexec_b32 s7, s3
	s_cbranch_execz .LBB0_10
; %bb.9:
	v_dual_mov_b32 v4, 0 :: v_dual_add_nc_u32 v3, 25, v59
	s_delay_alu instid0(VALU_DEP_1) | instskip(NEXT) | instid1(VALU_DEP_1)
	v_mul_lo_u32 v3, s8, v3
	v_add3_u32 v3, s6, v24, v3
	s_delay_alu instid0(VALU_DEP_1) | instskip(NEXT) | instid1(VALU_DEP_1)
	v_lshlrev_b64_e32 v[3:4], 3, v[3:4]
	v_add_co_u32 v3, vcc_lo, s4, v3
	s_wait_alu 0xfffd
	s_delay_alu instid0(VALU_DEP_2)
	v_add_co_ci_u32_e32 v4, vcc_lo, s5, v4, vcc_lo
	global_load_b64 v[11:12], v[3:4], off
.LBB0_10:
	s_wait_alu 0xfffe
	s_or_b32 exec_lo, exec_lo, s7
	v_dual_mov_b32 v14, 0 :: v_dual_mov_b32 v15, 0
	v_mov_b32_e32 v16, 0
	s_and_saveexec_b32 s7, s3
	s_cbranch_execz .LBB0_12
; %bb.11:
	v_dual_mov_b32 v4, 0 :: v_dual_add_nc_u32 v3, 50, v59
	s_delay_alu instid0(VALU_DEP_1) | instskip(NEXT) | instid1(VALU_DEP_1)
	v_mul_lo_u32 v3, s8, v3
	v_add3_u32 v3, s6, v24, v3
	s_delay_alu instid0(VALU_DEP_1) | instskip(NEXT) | instid1(VALU_DEP_1)
	v_lshlrev_b64_e32 v[3:4], 3, v[3:4]
	v_add_co_u32 v3, vcc_lo, s4, v3
	s_wait_alu 0xfffd
	s_delay_alu instid0(VALU_DEP_2)
	v_add_co_ci_u32_e32 v4, vcc_lo, s5, v4, vcc_lo
	global_load_b64 v[15:16], v[3:4], off
.LBB0_12:
	s_wait_alu 0xfffe
	s_or_b32 exec_lo, exec_lo, s7
	v_mov_b32_e32 v13, 0
	s_and_saveexec_b32 s7, s3
	s_cbranch_execz .LBB0_14
; %bb.13:
	v_dual_mov_b32 v4, 0 :: v_dual_add_nc_u32 v3, 0x4b, v59
	s_delay_alu instid0(VALU_DEP_1) | instskip(NEXT) | instid1(VALU_DEP_1)
	v_mul_lo_u32 v3, s8, v3
	v_add3_u32 v3, s6, v24, v3
	s_delay_alu instid0(VALU_DEP_1) | instskip(NEXT) | instid1(VALU_DEP_1)
	v_lshlrev_b64_e32 v[3:4], 3, v[3:4]
	v_add_co_u32 v3, vcc_lo, s4, v3
	s_wait_alu 0xfffd
	s_delay_alu instid0(VALU_DEP_2)
	v_add_co_ci_u32_e32 v4, vcc_lo, s5, v4, vcc_lo
	global_load_b64 v[13:14], v[3:4], off
.LBB0_14:
	s_wait_alu 0xfffe
	s_or_b32 exec_lo, exec_lo, s7
	v_dual_mov_b32 v4, 0 :: v_dual_mov_b32 v25, 0
	v_mov_b32_e32 v26, 0
	s_and_saveexec_b32 s7, s3
	s_cbranch_execz .LBB0_16
; %bb.15:
	v_dual_mov_b32 v6, 0 :: v_dual_add_nc_u32 v3, 0x64, v59
	s_delay_alu instid0(VALU_DEP_1) | instskip(NEXT) | instid1(VALU_DEP_1)
	v_mul_lo_u32 v3, s8, v3
	v_add3_u32 v5, s6, v24, v3
	s_delay_alu instid0(VALU_DEP_1) | instskip(NEXT) | instid1(VALU_DEP_1)
	v_lshlrev_b64_e32 v[5:6], 3, v[5:6]
	v_add_co_u32 v5, vcc_lo, s4, v5
	s_wait_alu 0xfffd
	s_delay_alu instid0(VALU_DEP_2)
	v_add_co_ci_u32_e32 v6, vcc_lo, s5, v6, vcc_lo
	global_load_b64 v[25:26], v[5:6], off
.LBB0_16:
	s_wait_alu 0xfffe
	s_or_b32 exec_lo, exec_lo, s7
	v_dual_mov_b32 v3, 0 :: v_dual_add_nc_u32 v62, 5, v59
	s_and_saveexec_b32 s7, s3
	s_cbranch_execz .LBB0_18
; %bb.17:
	s_delay_alu instid0(VALU_DEP_1) | instskip(SKIP_1) | instid1(VALU_DEP_2)
	v_mul_lo_u32 v3, s8, v62
	v_mov_b32_e32 v4, 0
	v_add3_u32 v3, s6, v24, v3
	s_delay_alu instid0(VALU_DEP_1) | instskip(NEXT) | instid1(VALU_DEP_1)
	v_lshlrev_b64_e32 v[3:4], 3, v[3:4]
	v_add_co_u32 v3, vcc_lo, s4, v3
	s_wait_alu 0xfffd
	s_delay_alu instid0(VALU_DEP_2)
	v_add_co_ci_u32_e32 v4, vcc_lo, s5, v4, vcc_lo
	global_load_b64 v[3:4], v[3:4], off
.LBB0_18:
	s_wait_alu 0xfffe
	s_or_b32 exec_lo, exec_lo, s7
	v_dual_mov_b32 v18, 0 :: v_dual_mov_b32 v19, 0
	v_mov_b32_e32 v20, 0
	s_and_saveexec_b32 s7, s3
	s_cbranch_execz .LBB0_20
; %bb.19:
	v_dual_mov_b32 v6, 0 :: v_dual_add_nc_u32 v5, 30, v59
	s_delay_alu instid0(VALU_DEP_1) | instskip(NEXT) | instid1(VALU_DEP_1)
	v_mul_lo_u32 v5, s8, v5
	v_add3_u32 v5, s6, v24, v5
	s_delay_alu instid0(VALU_DEP_1) | instskip(NEXT) | instid1(VALU_DEP_1)
	v_lshlrev_b64_e32 v[5:6], 3, v[5:6]
	v_add_co_u32 v5, vcc_lo, s4, v5
	s_wait_alu 0xfffd
	s_delay_alu instid0(VALU_DEP_2)
	v_add_co_ci_u32_e32 v6, vcc_lo, s5, v6, vcc_lo
	global_load_b64 v[19:20], v[5:6], off
.LBB0_20:
	s_wait_alu 0xfffe
	s_or_b32 exec_lo, exec_lo, s7
	v_mov_b32_e32 v17, 0
	s_and_saveexec_b32 s7, s3
	s_cbranch_execz .LBB0_22
; %bb.21:
	v_dual_mov_b32 v6, 0 :: v_dual_add_nc_u32 v5, 55, v59
	s_delay_alu instid0(VALU_DEP_1) | instskip(NEXT) | instid1(VALU_DEP_1)
	v_mul_lo_u32 v5, s8, v5
	v_add3_u32 v5, s6, v24, v5
	s_delay_alu instid0(VALU_DEP_1) | instskip(NEXT) | instid1(VALU_DEP_1)
	v_lshlrev_b64_e32 v[5:6], 3, v[5:6]
	v_add_co_u32 v5, vcc_lo, s4, v5
	s_wait_alu 0xfffd
	s_delay_alu instid0(VALU_DEP_2)
	v_add_co_ci_u32_e32 v6, vcc_lo, s5, v6, vcc_lo
	global_load_b64 v[17:18], v[5:6], off
.LBB0_22:
	s_wait_alu 0xfffe
	s_or_b32 exec_lo, exec_lo, s7
	v_dual_mov_b32 v28, 0 :: v_dual_mov_b32 v29, 0
	v_mov_b32_e32 v30, 0
	s_and_saveexec_b32 s7, s3
	s_cbranch_execz .LBB0_24
; %bb.23:
	v_dual_mov_b32 v6, 0 :: v_dual_add_nc_u32 v5, 0x50, v59
	s_delay_alu instid0(VALU_DEP_1) | instskip(NEXT) | instid1(VALU_DEP_1)
	v_mul_lo_u32 v5, s8, v5
	v_add3_u32 v5, s6, v24, v5
	s_delay_alu instid0(VALU_DEP_1) | instskip(NEXT) | instid1(VALU_DEP_1)
	v_lshlrev_b64_e32 v[5:6], 3, v[5:6]
	v_add_co_u32 v5, vcc_lo, s4, v5
	s_wait_alu 0xfffd
	s_delay_alu instid0(VALU_DEP_2)
	v_add_co_ci_u32_e32 v6, vcc_lo, s5, v6, vcc_lo
	global_load_b64 v[29:30], v[5:6], off
.LBB0_24:
	s_wait_alu 0xfffe
	s_or_b32 exec_lo, exec_lo, s7
	v_mov_b32_e32 v27, 0
	s_and_saveexec_b32 s7, s3
	s_cbranch_execz .LBB0_26
; %bb.25:
	v_dual_mov_b32 v6, 0 :: v_dual_add_nc_u32 v5, 0x69, v59
	s_delay_alu instid0(VALU_DEP_1) | instskip(NEXT) | instid1(VALU_DEP_1)
	v_mul_lo_u32 v5, s8, v5
	v_add3_u32 v5, s6, v24, v5
	s_delay_alu instid0(VALU_DEP_1) | instskip(NEXT) | instid1(VALU_DEP_1)
	v_lshlrev_b64_e32 v[5:6], 3, v[5:6]
	v_add_co_u32 v5, vcc_lo, s4, v5
	s_wait_alu 0xfffd
	s_delay_alu instid0(VALU_DEP_2)
	v_add_co_ci_u32_e32 v6, vcc_lo, s5, v6, vcc_lo
	global_load_b64 v[27:28], v[5:6], off
.LBB0_26:
	s_wait_alu 0xfffe
	s_or_b32 exec_lo, exec_lo, s7
	v_dual_mov_b32 v6, 0 :: v_dual_add_nc_u32 v63, 10, v59
	v_mov_b32_e32 v23, 0
	v_mov_b32_e32 v5, 0
	s_and_saveexec_b32 s7, s3
	s_cbranch_execz .LBB0_28
; %bb.27:
	v_mul_lo_u32 v5, s8, v63
	v_mov_b32_e32 v6, 0
	s_delay_alu instid0(VALU_DEP_2) | instskip(NEXT) | instid1(VALU_DEP_1)
	v_add3_u32 v5, s6, v24, v5
	v_lshlrev_b64_e32 v[5:6], 3, v[5:6]
	s_delay_alu instid0(VALU_DEP_1) | instskip(SKIP_1) | instid1(VALU_DEP_2)
	v_add_co_u32 v5, vcc_lo, s4, v5
	s_wait_alu 0xfffd
	v_add_co_ci_u32_e32 v6, vcc_lo, s5, v6, vcc_lo
	global_load_b64 v[5:6], v[5:6], off
.LBB0_28:
	s_wait_alu 0xfffe
	s_or_b32 exec_lo, exec_lo, s7
	v_mov_b32_e32 v22, 0
	s_and_saveexec_b32 s7, s3
	s_cbranch_execz .LBB0_30
; %bb.29:
	v_dual_mov_b32 v8, 0 :: v_dual_add_nc_u32 v7, 35, v59
	s_delay_alu instid0(VALU_DEP_1) | instskip(NEXT) | instid1(VALU_DEP_1)
	v_mul_lo_u32 v7, s8, v7
	v_add3_u32 v7, s6, v24, v7
	s_delay_alu instid0(VALU_DEP_1) | instskip(NEXT) | instid1(VALU_DEP_1)
	v_lshlrev_b64_e32 v[7:8], 3, v[7:8]
	v_add_co_u32 v7, vcc_lo, s4, v7
	s_wait_alu 0xfffd
	s_delay_alu instid0(VALU_DEP_2)
	v_add_co_ci_u32_e32 v8, vcc_lo, s5, v8, vcc_lo
	global_load_b64 v[22:23], v[7:8], off
.LBB0_30:
	s_wait_alu 0xfffe
	s_or_b32 exec_lo, exec_lo, s7
	v_dual_mov_b32 v32, 0 :: v_dual_mov_b32 v33, 0
	v_mov_b32_e32 v34, 0
	s_and_saveexec_b32 s7, s3
	s_cbranch_execz .LBB0_32
; %bb.31:
	v_dual_mov_b32 v8, 0 :: v_dual_add_nc_u32 v7, 60, v59
	s_delay_alu instid0(VALU_DEP_1) | instskip(NEXT) | instid1(VALU_DEP_1)
	v_mul_lo_u32 v7, s8, v7
	v_add3_u32 v7, s6, v24, v7
	s_delay_alu instid0(VALU_DEP_1) | instskip(NEXT) | instid1(VALU_DEP_1)
	v_lshlrev_b64_e32 v[7:8], 3, v[7:8]
	v_add_co_u32 v7, vcc_lo, s4, v7
	s_wait_alu 0xfffd
	s_delay_alu instid0(VALU_DEP_2)
	v_add_co_ci_u32_e32 v8, vcc_lo, s5, v8, vcc_lo
	global_load_b64 v[33:34], v[7:8], off
.LBB0_32:
	s_wait_alu 0xfffe
	s_or_b32 exec_lo, exec_lo, s7
	v_mov_b32_e32 v31, 0
	s_and_saveexec_b32 s7, s3
	s_cbranch_execz .LBB0_34
; %bb.33:
	v_dual_mov_b32 v8, 0 :: v_dual_add_nc_u32 v7, 0x55, v59
	s_delay_alu instid0(VALU_DEP_1) | instskip(NEXT) | instid1(VALU_DEP_1)
	v_mul_lo_u32 v7, s8, v7
	v_add3_u32 v7, s6, v24, v7
	s_delay_alu instid0(VALU_DEP_1) | instskip(NEXT) | instid1(VALU_DEP_1)
	v_lshlrev_b64_e32 v[7:8], 3, v[7:8]
	v_add_co_u32 v7, vcc_lo, s4, v7
	s_wait_alu 0xfffd
	s_delay_alu instid0(VALU_DEP_2)
	v_add_co_ci_u32_e32 v8, vcc_lo, s5, v8, vcc_lo
	global_load_b64 v[31:32], v[7:8], off
.LBB0_34:
	s_wait_alu 0xfffe
	s_or_b32 exec_lo, exec_lo, s7
	v_dual_mov_b32 v8, 0 :: v_dual_mov_b32 v47, 0
	v_mov_b32_e32 v48, 0
	s_and_saveexec_b32 s7, s3
	s_cbranch_execz .LBB0_36
; %bb.35:
	v_dual_mov_b32 v10, 0 :: v_dual_add_nc_u32 v7, 0x6e, v59
	s_delay_alu instid0(VALU_DEP_1) | instskip(NEXT) | instid1(VALU_DEP_1)
	v_mul_lo_u32 v7, s8, v7
	v_add3_u32 v9, s6, v24, v7
	s_delay_alu instid0(VALU_DEP_1) | instskip(NEXT) | instid1(VALU_DEP_1)
	v_lshlrev_b64_e32 v[9:10], 3, v[9:10]
	v_add_co_u32 v9, vcc_lo, s4, v9
	s_wait_alu 0xfffd
	s_delay_alu instid0(VALU_DEP_2)
	v_add_co_ci_u32_e32 v10, vcc_lo, s5, v10, vcc_lo
	global_load_b64 v[47:48], v[9:10], off
.LBB0_36:
	s_wait_alu 0xfffe
	s_or_b32 exec_lo, exec_lo, s7
	v_add_nc_u32_e32 v65, 15, v59
	v_mov_b32_e32 v7, 0
	s_and_saveexec_b32 s7, s3
	s_cbranch_execz .LBB0_38
; %bb.37:
	s_delay_alu instid0(VALU_DEP_2) | instskip(SKIP_1) | instid1(VALU_DEP_2)
	v_mul_lo_u32 v7, s8, v65
	v_mov_b32_e32 v8, 0
	v_add3_u32 v7, s6, v24, v7
	s_delay_alu instid0(VALU_DEP_1) | instskip(NEXT) | instid1(VALU_DEP_1)
	v_lshlrev_b64_e32 v[7:8], 3, v[7:8]
	v_add_co_u32 v7, vcc_lo, s4, v7
	s_wait_alu 0xfffd
	s_delay_alu instid0(VALU_DEP_2)
	v_add_co_ci_u32_e32 v8, vcc_lo, s5, v8, vcc_lo
	global_load_b64 v[7:8], v[7:8], off
.LBB0_38:
	s_wait_alu 0xfffe
	s_or_b32 exec_lo, exec_lo, s7
	v_dual_mov_b32 v36, 0 :: v_dual_mov_b32 v37, 0
	v_mov_b32_e32 v38, 0
	s_and_saveexec_b32 s7, s3
	s_cbranch_execz .LBB0_40
; %bb.39:
	v_dual_mov_b32 v10, 0 :: v_dual_add_nc_u32 v9, 40, v59
	s_delay_alu instid0(VALU_DEP_1) | instskip(NEXT) | instid1(VALU_DEP_1)
	v_mul_lo_u32 v9, s8, v9
	v_add3_u32 v9, s6, v24, v9
	s_delay_alu instid0(VALU_DEP_1) | instskip(NEXT) | instid1(VALU_DEP_1)
	v_lshlrev_b64_e32 v[9:10], 3, v[9:10]
	v_add_co_u32 v9, vcc_lo, s4, v9
	s_wait_alu 0xfffd
	s_delay_alu instid0(VALU_DEP_2)
	v_add_co_ci_u32_e32 v10, vcc_lo, s5, v10, vcc_lo
	global_load_b64 v[37:38], v[9:10], off
.LBB0_40:
	s_wait_alu 0xfffe
	s_or_b32 exec_lo, exec_lo, s7
	v_mov_b32_e32 v35, 0
	s_and_saveexec_b32 s7, s3
	s_cbranch_execz .LBB0_42
; %bb.41:
	v_dual_mov_b32 v10, 0 :: v_dual_add_nc_u32 v9, 0x41, v59
	s_delay_alu instid0(VALU_DEP_1) | instskip(NEXT) | instid1(VALU_DEP_1)
	v_mul_lo_u32 v9, s8, v9
	v_add3_u32 v9, s6, v24, v9
	s_delay_alu instid0(VALU_DEP_1) | instskip(NEXT) | instid1(VALU_DEP_1)
	v_lshlrev_b64_e32 v[9:10], 3, v[9:10]
	v_add_co_u32 v9, vcc_lo, s4, v9
	s_wait_alu 0xfffd
	s_delay_alu instid0(VALU_DEP_2)
	v_add_co_ci_u32_e32 v10, vcc_lo, s5, v10, vcc_lo
	global_load_b64 v[35:36], v[9:10], off
.LBB0_42:
	s_wait_alu 0xfffe
	s_or_b32 exec_lo, exec_lo, s7
	v_dual_mov_b32 v50, 0 :: v_dual_mov_b32 v51, 0
	v_mov_b32_e32 v52, 0
	s_and_saveexec_b32 s7, s3
	s_cbranch_execz .LBB0_44
; %bb.43:
	v_dual_mov_b32 v10, 0 :: v_dual_add_nc_u32 v9, 0x5a, v59
	s_delay_alu instid0(VALU_DEP_1) | instskip(NEXT) | instid1(VALU_DEP_1)
	v_mul_lo_u32 v9, s8, v9
	v_add3_u32 v9, s6, v24, v9
	s_delay_alu instid0(VALU_DEP_1) | instskip(NEXT) | instid1(VALU_DEP_1)
	v_lshlrev_b64_e32 v[9:10], 3, v[9:10]
	v_add_co_u32 v9, vcc_lo, s4, v9
	s_wait_alu 0xfffd
	s_delay_alu instid0(VALU_DEP_2)
	v_add_co_ci_u32_e32 v10, vcc_lo, s5, v10, vcc_lo
	global_load_b64 v[51:52], v[9:10], off
.LBB0_44:
	s_wait_alu 0xfffe
	s_or_b32 exec_lo, exec_lo, s7
	v_mov_b32_e32 v49, 0
	s_and_saveexec_b32 s7, s3
	s_cbranch_execz .LBB0_46
; %bb.45:
	v_dual_mov_b32 v10, 0 :: v_dual_add_nc_u32 v9, 0x73, v59
	s_delay_alu instid0(VALU_DEP_1) | instskip(NEXT) | instid1(VALU_DEP_1)
	v_mul_lo_u32 v9, s8, v9
	v_add3_u32 v9, s6, v24, v9
	s_delay_alu instid0(VALU_DEP_1) | instskip(NEXT) | instid1(VALU_DEP_1)
	v_lshlrev_b64_e32 v[9:10], 3, v[9:10]
	v_add_co_u32 v9, vcc_lo, s4, v9
	s_wait_alu 0xfffd
	s_delay_alu instid0(VALU_DEP_2)
	v_add_co_ci_u32_e32 v10, vcc_lo, s5, v10, vcc_lo
	global_load_b64 v[49:50], v[9:10], off
.LBB0_46:
	s_wait_alu 0xfffe
	s_or_b32 exec_lo, exec_lo, s7
	v_dual_mov_b32 v9, 0 :: v_dual_add_nc_u32 v66, 20, v59
	v_mov_b32_e32 v40, 0
	v_mov_b32_e32 v10, 0
	s_and_saveexec_b32 s7, s3
	s_cbranch_execz .LBB0_48
; %bb.47:
	v_mul_lo_u32 v9, s8, v66
	v_mov_b32_e32 v10, 0
	s_delay_alu instid0(VALU_DEP_2) | instskip(NEXT) | instid1(VALU_DEP_1)
	v_add3_u32 v9, s6, v24, v9
	v_lshlrev_b64_e32 v[9:10], 3, v[9:10]
	s_delay_alu instid0(VALU_DEP_1) | instskip(SKIP_1) | instid1(VALU_DEP_2)
	v_add_co_u32 v9, vcc_lo, s4, v9
	s_wait_alu 0xfffd
	v_add_co_ci_u32_e32 v10, vcc_lo, s5, v10, vcc_lo
	global_load_b64 v[9:10], v[9:10], off
.LBB0_48:
	s_wait_alu 0xfffe
	s_or_b32 exec_lo, exec_lo, s7
	v_mov_b32_e32 v39, 0
	s_and_saveexec_b32 s7, s3
	s_cbranch_execz .LBB0_50
; %bb.49:
	v_dual_mov_b32 v40, 0 :: v_dual_add_nc_u32 v39, 45, v59
	s_delay_alu instid0(VALU_DEP_1) | instskip(NEXT) | instid1(VALU_DEP_1)
	v_mul_lo_u32 v39, s8, v39
	v_add3_u32 v39, s6, v24, v39
	s_delay_alu instid0(VALU_DEP_1) | instskip(NEXT) | instid1(VALU_DEP_1)
	v_lshlrev_b64_e32 v[39:40], 3, v[39:40]
	v_add_co_u32 v39, vcc_lo, s4, v39
	s_wait_alu 0xfffd
	s_delay_alu instid0(VALU_DEP_2)
	v_add_co_ci_u32_e32 v40, vcc_lo, s5, v40, vcc_lo
	global_load_b64 v[39:40], v[39:40], off
.LBB0_50:
	s_wait_alu 0xfffe
	s_or_b32 exec_lo, exec_lo, s7
	v_dual_mov_b32 v54, 0 :: v_dual_mov_b32 v55, 0
	v_mov_b32_e32 v56, 0
	s_and_saveexec_b32 s7, s3
	s_cbranch_execz .LBB0_52
; %bb.51:
	v_dual_mov_b32 v42, 0 :: v_dual_add_nc_u32 v41, 0x46, v59
	s_delay_alu instid0(VALU_DEP_1) | instskip(NEXT) | instid1(VALU_DEP_1)
	v_mul_lo_u32 v41, s8, v41
	v_add3_u32 v41, s6, v24, v41
	s_delay_alu instid0(VALU_DEP_1) | instskip(NEXT) | instid1(VALU_DEP_1)
	v_lshlrev_b64_e32 v[41:42], 3, v[41:42]
	v_add_co_u32 v41, vcc_lo, s4, v41
	s_wait_alu 0xfffd
	s_delay_alu instid0(VALU_DEP_2)
	v_add_co_ci_u32_e32 v42, vcc_lo, s5, v42, vcc_lo
	global_load_b64 v[55:56], v[41:42], off
.LBB0_52:
	s_wait_alu 0xfffe
	s_or_b32 exec_lo, exec_lo, s7
	s_clause 0x1
	s_load_b64 s[10:11], s[0:1], 0x20
	s_load_b64 s[16:17], s[0:1], 0x0
	v_mov_b32_e32 v53, 0
	s_and_saveexec_b32 s7, s3
	s_cbranch_execz .LBB0_54
; %bb.53:
	v_dual_mov_b32 v42, 0 :: v_dual_add_nc_u32 v41, 0x5f, v59
	s_delay_alu instid0(VALU_DEP_1) | instskip(NEXT) | instid1(VALU_DEP_1)
	v_mul_lo_u32 v41, s8, v41
	v_add3_u32 v41, s6, v24, v41
	s_delay_alu instid0(VALU_DEP_1) | instskip(NEXT) | instid1(VALU_DEP_1)
	v_lshlrev_b64_e32 v[41:42], 3, v[41:42]
	v_add_co_u32 v41, vcc_lo, s4, v41
	s_wait_alu 0xfffd
	s_delay_alu instid0(VALU_DEP_2)
	v_add_co_ci_u32_e32 v42, vcc_lo, s5, v42, vcc_lo
	global_load_b64 v[53:54], v[41:42], off
.LBB0_54:
	s_wait_alu 0xfffe
	s_or_b32 exec_lo, exec_lo, s7
	v_dual_mov_b32 v58, 0 :: v_dual_mov_b32 v57, 0
	s_and_saveexec_b32 s7, s3
	s_cbranch_execz .LBB0_56
; %bb.55:
	v_dual_mov_b32 v42, 0 :: v_dual_add_nc_u32 v41, 0x78, v59
	s_delay_alu instid0(VALU_DEP_1) | instskip(NEXT) | instid1(VALU_DEP_1)
	v_mul_lo_u32 v41, s8, v41
	v_add3_u32 v41, s6, v24, v41
	s_delay_alu instid0(VALU_DEP_1) | instskip(NEXT) | instid1(VALU_DEP_1)
	v_lshlrev_b64_e32 v[41:42], 3, v[41:42]
	v_add_co_u32 v41, vcc_lo, s4, v41
	s_wait_alu 0xfffd
	s_delay_alu instid0(VALU_DEP_2)
	v_add_co_ci_u32_e32 v42, vcc_lo, s5, v42, vcc_lo
	global_load_b64 v[57:58], v[41:42], off
.LBB0_56:
	s_wait_alu 0xfffe
	s_or_b32 exec_lo, exec_lo, s7
	s_wait_loadcnt 0x0
	v_dual_sub_f32 v44, v12, v26 :: v_dual_sub_f32 v43, v11, v15
	v_add_f32_e32 v60, v11, v25
	v_add_f32_e32 v24, v15, v13
	v_dual_sub_f32 v46, v16, v14 :: v_dual_sub_f32 v45, v25, v13
	v_add_f32_e32 v42, v1, v11
	s_wait_kmcnt 0x0
	s_load_b256 s[4:11], s[10:11], 0x0
	v_fma_f32 v41, -0.5, v24, v1
	v_sub_f32_e32 v61, v15, v11
	s_delay_alu instid0(VALU_DEP_2) | instskip(SKIP_2) | instid1(VALU_DEP_2)
	v_dual_add_f32 v67, v43, v45 :: v_dual_fmamk_f32 v24, v44, 0xbf737871, v41
	v_dual_fmac_f32 v41, 0x3f737871, v44 :: v_dual_add_f32 v42, v42, v15
	v_dual_fmac_f32 v1, -0.5, v60 :: v_dual_sub_f32 v60, v13, v25
	v_fmac_f32_e32 v41, 0x3f167918, v46
	s_delay_alu instid0(VALU_DEP_2) | instskip(NEXT) | instid1(VALU_DEP_4)
	v_dual_add_f32 v68, v16, v14 :: v_dual_fmamk_f32 v43, v46, 0x3f737871, v1
	v_dual_add_f32 v42, v42, v13 :: v_dual_fmac_f32 v1, 0xbf737871, v46
	s_delay_alu instid0(VALU_DEP_3) | instskip(NEXT) | instid1(VALU_DEP_3)
	v_fmac_f32_e32 v41, 0x3e9e377a, v67
	v_dual_fmac_f32 v43, 0xbf167918, v44 :: v_dual_fmac_f32 v24, 0xbf167918, v46
	s_delay_alu instid0(VALU_DEP_3) | instskip(SKIP_1) | instid1(VALU_DEP_3)
	v_add_f32_e32 v45, v42, v25
	v_add_f32_e32 v42, v2, v12
	v_fmac_f32_e32 v24, 0x3e9e377a, v67
	s_delay_alu instid0(VALU_DEP_2) | instskip(SKIP_3) | instid1(VALU_DEP_1)
	v_add_f32_e32 v46, v42, v16
	v_add_f32_e32 v60, v61, v60
	v_fma_f32 v42, -0.5, v68, v2
	v_dual_sub_f32 v61, v11, v25 :: v_dual_add_f32 v68, v18, v30
	v_fmamk_f32 v25, v61, 0x3f737871, v42
	v_add_f32_e32 v11, v46, v14
	v_fmac_f32_e32 v43, 0x3e9e377a, v60
	v_dual_fmac_f32 v1, 0x3f167918, v44 :: v_dual_add_f32 v44, v12, v26
	v_sub_f32_e32 v13, v15, v13
	v_dual_sub_f32 v15, v12, v16 :: v_dual_fmac_f32 v42, 0xbf737871, v61
	v_add_f32_e32 v46, v11, v26
	s_delay_alu instid0(VALU_DEP_4) | instskip(SKIP_1) | instid1(VALU_DEP_4)
	v_dual_fmac_f32 v2, -0.5, v44 :: v_dual_sub_f32 v67, v26, v14
	v_fmac_f32_e32 v1, 0x3e9e377a, v60
	v_dual_sub_f32 v11, v16, v12 :: v_dual_fmac_f32 v42, 0xbf167918, v13
	s_delay_alu instid0(VALU_DEP_3) | instskip(SKIP_3) | instid1(VALU_DEP_4)
	v_dual_fmamk_f32 v44, v13, 0xbf737871, v2 :: v_dual_add_f32 v15, v15, v67
	v_sub_f32_e32 v12, v14, v26
	v_add_f32_e32 v14, v17, v29
	v_fmac_f32_e32 v25, 0x3f167918, v13
	v_dual_fmac_f32 v44, 0x3f167918, v61 :: v_dual_add_f32 v67, v19, v27
	s_delay_alu instid0(VALU_DEP_4) | instskip(NEXT) | instid1(VALU_DEP_4)
	v_add_f32_e32 v12, v11, v12
	v_fma_f32 v11, -0.5, v14, v3
	s_delay_alu instid0(VALU_DEP_4) | instskip(SKIP_2) | instid1(VALU_DEP_3)
	v_dual_fmac_f32 v25, 0x3e9e377a, v15 :: v_dual_sub_f32 v14, v20, v28
	v_add_f32_e32 v16, v3, v19
	v_dual_fmac_f32 v2, 0x3f737871, v13 :: v_dual_fmac_f32 v3, -0.5, v67
	v_dual_sub_f32 v60, v27, v29 :: v_dual_fmamk_f32 v13, v14, 0xbf737871, v11
	v_fmac_f32_e32 v11, 0x3f737871, v14
	s_delay_alu instid0(VALU_DEP_4) | instskip(SKIP_2) | instid1(VALU_DEP_3)
	v_dual_fmac_f32 v42, 0x3e9e377a, v15 :: v_dual_add_f32 v15, v16, v17
	v_fmac_f32_e32 v44, 0x3e9e377a, v12
	v_dual_fmac_f32 v2, 0xbf167918, v61 :: v_dual_sub_f32 v61, v29, v27
	v_dual_add_f32 v15, v15, v29 :: v_dual_sub_f32 v16, v18, v30
	s_delay_alu instid0(VALU_DEP_2) | instskip(NEXT) | instid1(VALU_DEP_2)
	v_dual_fmac_f32 v2, 0x3e9e377a, v12 :: v_dual_sub_f32 v29, v17, v29
	v_add_f32_e32 v15, v15, v27
	s_delay_alu instid0(VALU_DEP_3) | instskip(SKIP_1) | instid1(VALU_DEP_2)
	v_dual_sub_f32 v26, v19, v17 :: v_dual_fmac_f32 v13, 0xbf167918, v16
	v_dual_sub_f32 v12, v17, v19 :: v_dual_fmac_f32 v11, 0x3f167918, v16
	v_dual_sub_f32 v17, v20, v18 :: v_dual_add_f32 v60, v26, v60
	v_fmamk_f32 v26, v16, 0x3f737871, v3
	v_add_f32_e32 v67, v4, v20
	s_delay_alu instid0(VALU_DEP_4)
	v_add_f32_e32 v61, v12, v61
	v_fma_f32 v12, -0.5, v68, v4
	v_fmac_f32_e32 v13, 0x3e9e377a, v60
	v_fmac_f32_e32 v26, 0xbf167918, v14
	v_dual_fmac_f32 v3, 0xbf737871, v16 :: v_dual_add_f32 v16, v67, v18
	v_sub_f32_e32 v67, v19, v27
	v_add_f32_e32 v19, v20, v28
	v_sub_f32_e32 v27, v28, v30
	s_delay_alu instid0(VALU_DEP_4) | instskip(SKIP_4) | instid1(VALU_DEP_3)
	v_fmac_f32_e32 v3, 0x3f167918, v14
	v_dual_fmac_f32 v11, 0x3e9e377a, v60 :: v_dual_fmac_f32 v26, 0x3e9e377a, v61
	v_fmamk_f32 v14, v67, 0x3f737871, v12
	v_fmac_f32_e32 v12, 0xbf737871, v67
	v_add_f32_e32 v68, v34, v32
	v_fmac_f32_e32 v14, 0x3f167918, v29
	v_fmac_f32_e32 v4, -0.5, v19
	v_dual_add_f32 v16, v16, v30 :: v_dual_fmac_f32 v3, 0x3e9e377a, v61
	v_add_f32_e32 v19, v17, v27
	v_sub_f32_e32 v17, v18, v20
	s_delay_alu instid0(VALU_DEP_4) | instskip(NEXT) | instid1(VALU_DEP_4)
	v_dual_fmamk_f32 v27, v29, 0xbf737871, v4 :: v_dual_sub_f32 v18, v30, v28
	v_add_f32_e32 v16, v16, v28
	s_delay_alu instid0(VALU_DEP_4) | instskip(SKIP_1) | instid1(VALU_DEP_4)
	v_fmac_f32_e32 v14, 0x3e9e377a, v19
	v_fmac_f32_e32 v12, 0xbf167918, v29
	v_dual_fmac_f32 v27, 0x3f167918, v67 :: v_dual_add_f32 v18, v17, v18
	v_add_f32_e32 v20, v33, v31
	v_add_f32_e32 v61, v22, v47
	s_delay_alu instid0(VALU_DEP_3) | instskip(NEXT) | instid1(VALU_DEP_3)
	v_dual_sub_f32 v30, v22, v33 :: v_dual_fmac_f32 v27, 0x3e9e377a, v18
	v_fma_f32 v17, -0.5, v20, v5
	v_sub_f32_e32 v20, v23, v48
	v_add_f32_e32 v28, v5, v22
	v_dual_fmac_f32 v4, 0x3f737871, v29 :: v_dual_sub_f32 v29, v34, v32
	v_dual_fmac_f32 v12, 0x3e9e377a, v19 :: v_dual_fmac_f32 v5, -0.5, v61
	s_delay_alu instid0(VALU_DEP_4) | instskip(SKIP_2) | instid1(VALU_DEP_3)
	v_dual_fmamk_f32 v19, v20, 0xbf737871, v17 :: v_dual_sub_f32 v60, v47, v31
	v_fmac_f32_e32 v17, 0x3f737871, v20
	v_sub_f32_e32 v61, v31, v47
	v_dual_fmac_f32 v4, 0xbf167918, v67 :: v_dual_fmac_f32 v19, 0xbf167918, v29
	s_delay_alu instid0(VALU_DEP_4)
	v_add_f32_e32 v60, v30, v60
	v_fmamk_f32 v30, v29, 0x3f737871, v5
	v_fmac_f32_e32 v5, 0xbf737871, v29
	v_add_f32_e32 v28, v28, v33
	v_dual_fmac_f32 v4, 0x3e9e377a, v18 :: v_dual_add_f32 v67, v6, v23
	v_fmac_f32_e32 v19, 0x3e9e377a, v60
	s_delay_alu instid0(VALU_DEP_3) | instskip(SKIP_1) | instid1(VALU_DEP_4)
	v_dual_fmac_f32 v17, 0x3f167918, v29 :: v_dual_add_f32 v28, v28, v31
	v_sub_f32_e32 v18, v33, v22
	v_dual_add_f32 v29, v67, v34 :: v_dual_sub_f32 v22, v22, v47
	s_delay_alu instid0(VALU_DEP_3) | instskip(NEXT) | instid1(VALU_DEP_4)
	v_dual_fmac_f32 v5, 0x3f167918, v20 :: v_dual_add_f32 v28, v28, v47
	v_fmac_f32_e32 v17, 0x3e9e377a, v60
	s_delay_alu instid0(VALU_DEP_4) | instskip(SKIP_4) | instid1(VALU_DEP_3)
	v_add_f32_e32 v61, v18, v61
	v_add_f32_e32 v47, v23, v48
	v_dual_fmac_f32 v30, 0xbf167918, v20 :: v_dual_sub_f32 v33, v33, v31
	v_sub_f32_e32 v31, v23, v34
	v_fma_f32 v18, -0.5, v68, v6
	v_dual_add_f32 v29, v29, v32 :: v_dual_fmac_f32 v30, 0x3e9e377a, v61
	v_dual_sub_f32 v60, v48, v32 :: v_dual_fmac_f32 v5, 0x3e9e377a, v61
	s_delay_alu instid0(VALU_DEP_2) | instskip(NEXT) | instid1(VALU_DEP_2)
	v_dual_fmamk_f32 v20, v22, 0x3f737871, v18 :: v_dual_add_f32 v29, v29, v48
	v_dual_fmac_f32 v6, -0.5, v47 :: v_dual_add_f32 v47, v31, v60
	s_delay_alu instid0(VALU_DEP_2) | instskip(NEXT) | instid1(VALU_DEP_2)
	v_dual_sub_f32 v23, v34, v23 :: v_dual_fmac_f32 v20, 0x3f167918, v33
	v_dual_sub_f32 v32, v32, v48 :: v_dual_fmamk_f32 v31, v33, 0xbf737871, v6
	v_add_f32_e32 v34, v35, v51
	v_fmac_f32_e32 v18, 0xbf737871, v22
	v_dual_sub_f32 v48, v38, v50 :: v_dual_add_f32 v67, v37, v49
	s_delay_alu instid0(VALU_DEP_4)
	v_fmac_f32_e32 v31, 0x3f167918, v22
	v_add_f32_e32 v23, v23, v32
	v_add_f32_e32 v32, v7, v37
	v_fma_f32 v34, -0.5, v34, v7
	v_dual_fmac_f32 v6, 0x3f737871, v33 :: v_dual_fmac_f32 v7, -0.5, v67
	v_dual_fmac_f32 v18, 0xbf167918, v33 :: v_dual_sub_f32 v61, v49, v51
	v_fmac_f32_e32 v31, 0x3e9e377a, v23
	v_add_f32_e32 v32, v32, v35
	v_dual_fmamk_f32 v33, v48, 0xbf737871, v34 :: v_dual_sub_f32 v60, v37, v35
	v_fmac_f32_e32 v6, 0xbf167918, v22
	v_dual_fmac_f32 v20, 0x3e9e377a, v47 :: v_dual_add_f32 v67, v8, v38
	s_delay_alu instid0(VALU_DEP_2)
	v_dual_fmac_f32 v6, 0x3e9e377a, v23 :: v_dual_sub_f32 v23, v35, v37
	v_add_f32_e32 v22, v32, v51
	v_add_f32_e32 v32, v60, v61
	v_dual_fmac_f32 v18, 0x3e9e377a, v47 :: v_dual_sub_f32 v47, v36, v52
	v_dual_sub_f32 v61, v51, v49 :: v_dual_fmac_f32 v34, 0x3f737871, v48
	v_dual_sub_f32 v37, v37, v49 :: v_dual_add_f32 v68, v36, v52
	s_delay_alu instid0(VALU_DEP_3) | instskip(SKIP_1) | instid1(VALU_DEP_4)
	v_fmamk_f32 v60, v47, 0x3f737871, v7
	v_dual_fmac_f32 v33, 0xbf167918, v47 :: v_dual_add_f32 v22, v22, v49
	v_add_f32_e32 v23, v23, v61
	v_fmac_f32_e32 v7, 0xbf737871, v47
	v_dual_fmac_f32 v34, 0x3f167918, v47 :: v_dual_add_f32 v47, v67, v36
	v_fma_f32 v61, -0.5, v68, v8
	v_fmac_f32_e32 v33, 0x3e9e377a, v32
	s_delay_alu instid0(VALU_DEP_4) | instskip(SKIP_4) | instid1(VALU_DEP_4)
	v_fmac_f32_e32 v7, 0x3f167918, v48
	v_dual_fmac_f32 v60, 0xbf167918, v48 :: v_dual_sub_f32 v35, v35, v51
	v_fmac_f32_e32 v34, 0x3e9e377a, v32
	v_dual_add_f32 v32, v47, v52 :: v_dual_fmamk_f32 v47, v37, 0x3f737871, v61
	v_dual_add_f32 v48, v38, v50 :: v_dual_fmac_f32 v61, 0xbf737871, v37
	v_dual_fmac_f32 v60, 0x3e9e377a, v23 :: v_dual_sub_f32 v49, v38, v36
	v_fmac_f32_e32 v7, 0x3e9e377a, v23
	s_delay_alu instid0(VALU_DEP_3)
	v_dual_fmac_f32 v47, 0x3f167918, v35 :: v_dual_fmac_f32 v8, -0.5, v48
	v_add_f32_e32 v23, v32, v50
	v_sub_f32_e32 v51, v50, v52
	v_fmac_f32_e32 v61, 0xbf167918, v35
	v_add_f32_e32 v67, v39, v57
	v_fmamk_f32 v48, v35, 0xbf737871, v8
	s_delay_alu instid0(VALU_DEP_4) | instskip(SKIP_2) | instid1(VALU_DEP_4)
	v_dual_add_f32 v32, v49, v51 :: v_dual_add_f32 v49, v55, v53
	v_sub_f32_e32 v36, v36, v38
	v_sub_f32_e32 v38, v52, v50
	v_dual_fmac_f32 v48, 0x3f167918, v37 :: v_dual_sub_f32 v51, v39, v55
	s_delay_alu instid0(VALU_DEP_4) | instskip(SKIP_1) | instid1(VALU_DEP_4)
	v_fmac_f32_e32 v47, 0x3e9e377a, v32
	v_fma_f32 v49, -0.5, v49, v9
	v_dual_add_f32 v36, v36, v38 :: v_dual_fmac_f32 v61, 0x3e9e377a, v32
	v_sub_f32_e32 v50, v40, v58
	v_add_f32_e32 v38, v9, v39
	v_sub_f32_e32 v52, v57, v53
	v_fmac_f32_e32 v8, 0x3f737871, v35
	v_dual_fmac_f32 v48, 0x3e9e377a, v36 :: v_dual_fmac_f32 v9, -0.5, v67
	v_fmamk_f32 v35, v50, 0xbf737871, v49
	v_add_f32_e32 v32, v38, v55
	s_delay_alu instid0(VALU_DEP_4) | instskip(SKIP_3) | instid1(VALU_DEP_4)
	v_fmac_f32_e32 v8, 0xbf167918, v37
	v_fmac_f32_e32 v49, 0x3f737871, v50
	v_add_f32_e32 v37, v51, v52
	v_dual_sub_f32 v51, v55, v39 :: v_dual_sub_f32 v38, v56, v54
	v_fmac_f32_e32 v8, 0x3e9e377a, v36
	v_add_f32_e32 v67, v10, v40
	s_delay_alu instid0(VALU_DEP_3) | instskip(NEXT) | instid1(VALU_DEP_1)
	v_fmac_f32_e32 v35, 0xbf167918, v38
	v_fmac_f32_e32 v35, 0x3e9e377a, v37
	v_dual_add_f32 v32, v32, v53 :: v_dual_fmac_f32 v49, 0x3f167918, v38
	v_sub_f32_e32 v52, v53, v57
	v_fmamk_f32 v36, v38, 0x3f737871, v9
	v_add_f32_e32 v68, v56, v54
	s_delay_alu instid0(VALU_DEP_4) | instskip(NEXT) | instid1(VALU_DEP_3)
	v_dual_add_f32 v32, v32, v57 :: v_dual_fmac_f32 v9, 0xbf737871, v38
	v_dual_add_f32 v51, v51, v52 :: v_dual_fmac_f32 v36, 0xbf167918, v50
	v_add_f32_e32 v38, v67, v56
	v_sub_f32_e32 v57, v39, v57
	s_delay_alu instid0(VALU_DEP_4) | instskip(SKIP_4) | instid1(VALU_DEP_3)
	v_fmac_f32_e32 v9, 0x3f167918, v50
	v_fmac_f32_e32 v49, 0x3e9e377a, v37
	v_fma_f32 v52, -0.5, v68, v10
	v_add_f32_e32 v37, v38, v54
	v_dual_add_f32 v39, v40, v58 :: v_dual_sub_f32 v50, v55, v53
	v_dual_sub_f32 v55, v58, v54 :: v_dual_fmamk_f32 v38, v57, 0x3f737871, v52
	v_dual_sub_f32 v53, v40, v56 :: v_dual_fmac_f32 v36, 0x3e9e377a, v51
	s_delay_alu instid0(VALU_DEP_3) | instskip(SKIP_2) | instid1(VALU_DEP_4)
	v_dual_fmac_f32 v10, -0.5, v39 :: v_dual_add_f32 v37, v37, v58
	v_dual_fmac_f32 v52, 0xbf737871, v57 :: v_dual_lshlrev_b32 v39, 3, v64
	v_dual_fmac_f32 v9, 0x3e9e377a, v51 :: v_dual_sub_f32 v40, v56, v40
	v_dual_fmac_f32 v38, 0x3f167918, v50 :: v_dual_add_f32 v51, v53, v55
	v_sub_f32_e32 v54, v54, v58
	v_fmamk_f32 v53, v50, 0xbf737871, v10
	v_fmac_f32_e32 v10, 0x3f737871, v50
	v_mul_u32_u24_e32 v55, 0x500, v59
	v_fmac_f32_e32 v52, 0xbf167918, v50
	s_delay_alu instid0(VALU_DEP_4) | instskip(NEXT) | instid1(VALU_DEP_4)
	v_dual_add_f32 v40, v40, v54 :: v_dual_fmac_f32 v53, 0x3f167918, v57
	v_fmac_f32_e32 v10, 0xbf167918, v57
	s_delay_alu instid0(VALU_DEP_4)
	v_add3_u32 v50, 0, v55, v39
	v_fmac_f32_e32 v38, 0x3e9e377a, v51
	v_fmac_f32_e32 v52, 0x3e9e377a, v51
	v_and_b32_e32 v51, 0xff, v59
	v_fmac_f32_e32 v53, 0x3e9e377a, v40
	v_fmac_f32_e32 v10, 0x3e9e377a, v40
	v_add_nc_u32_e32 v40, 0x1800, v50
	ds_store_2addr_b64 v50, v[45:46], v[24:25] offset1:32
	ds_store_2addr_b64 v50, v[43:44], v[1:2] offset0:64 offset1:96
	ds_store_2addr_b64 v40, v[15:16], v[13:14] offset0:32 offset1:64
	v_mul_lo_u16 v1, 0xcd, v51
	v_add_nc_u32_e32 v2, 0x4c00, v50
	v_add_nc_u32_e32 v24, 0x3000, v50
	ds_store_2addr_b64 v40, v[26:27], v[3:4] offset0:96 offset1:128
	ds_store_2addr_b64 v24, v[28:29], v[19:20] offset0:64 offset1:96
	;; [unrolled: 1-line block ×3, first 2 shown]
	v_lshrrev_b16 v40, 10, v1
	ds_store_b64 v50, v[41:42] offset:1024
	ds_store_b64 v50, v[11:12] offset:7424
	;; [unrolled: 1-line block ×4, first 2 shown]
	ds_store_2addr_b32 v2, v33, v47 offset1:1
	v_add_nc_u32_e32 v1, 0x6400, v50
	ds_store_2addr_b32 v2, v60, v48 offset0:64 offset1:65
	ds_store_2addr_b32 v2, v7, v8 offset0:128 offset1:129
	v_and_b32_e32 v7, 0xff, v63
	v_and_b32_e32 v17, 0xff, v65
	ds_store_2addr_b32 v2, v34, v61 offset0:192 offset1:193
	ds_store_2addr_b32 v1, v32, v37 offset1:1
	ds_store_2addr_b32 v1, v35, v38 offset0:64 offset1:65
	ds_store_2addr_b32 v1, v36, v53 offset0:128 offset1:129
	;; [unrolled: 1-line block ×3, first 2 shown]
	v_mul_lo_u16 v9, 0xcd, v7
	v_mul_lo_u16 v17, 0xcd, v17
	;; [unrolled: 1-line block ×3, first 2 shown]
	v_and_b32_e32 v4, 0xff, v62
	v_mul_lo_u16 v40, v40, 25
	v_lshrrev_b16 v45, 10, v9
	v_lshrrev_b16 v47, 10, v17
	v_sub_nc_u16 v2, v59, v3
	v_mul_lo_u16 v3, 0xcd, v4
	v_add_nc_u32_e32 v4, 0x6800, v50
	v_mul_lo_u16 v14, v45, 5
	v_mul_lo_u16 v23, v47, 5
	v_and_b32_e32 v40, 0xff, v40
	v_lshrrev_b16 v41, 10, v3
	ds_store_2addr_b32 v4, v49, v52 offset1:1
	v_sub_nc_u16 v18, v63, v14
	v_sub_nc_u16 v26, v65, v23
	global_wb scope:SCOPE_SE
	s_wait_dscnt 0x0
	s_wait_kmcnt 0x0
	s_barrier_signal -1
	v_mul_lo_u16 v6, v41, 5
	v_and_b32_e32 v42, 0xff, v18
	v_and_b32_e32 v48, 0xff, v26
	s_barrier_wait -1
	global_inv scope:SCOPE_SE
	v_sub_nc_u16 v6, v62, v6
	v_lshlrev_b32_e32 v22, 5, v42
	v_lshlrev_b32_e32 v26, 5, v48
	v_and_b32_e32 v41, 0xffff, v41
	s_clause 0x1
	global_load_b128 v[17:20], v22, s[16:17]
	global_load_b128 v[51:54], v26, s[16:17]
	v_and_b32_e32 v44, 0xff, v2
	v_and_b32_e32 v38, 0xff, v66
	s_clause 0x1
	global_load_b128 v[22:25], v22, s[16:17] offset:16
	global_load_b128 v[55:58], v26, s[16:17] offset:16
	v_mul_u32_u24_e32 v41, 25, v41
	v_lshlrev_b32_e32 v5, 5, v44
	v_mul_lo_u16 v27, 0xcd, v38
	global_load_b128 v[1:4], v5, s[16:17]
	v_and_b32_e32 v43, 0xff, v6
	v_lshrrev_b16 v50, 10, v27
	s_delay_alu instid0(VALU_DEP_2) | instskip(NEXT) | instid1(VALU_DEP_2)
	v_lshlrev_b32_e32 v13, 5, v43
	v_mul_lo_u16 v27, v50, 5
	s_clause 0x2
	global_load_b128 v[9:12], v13, s[16:17]
	global_load_b128 v[5:8], v5, s[16:17] offset:16
	global_load_b128 v[13:16], v13, s[16:17] offset:16
	v_sub_nc_u16 v27, v66, v27
	s_delay_alu instid0(VALU_DEP_1) | instskip(NEXT) | instid1(VALU_DEP_1)
	v_and_b32_e32 v49, 0xff, v27
	v_lshlrev_b32_e32 v26, 5, v49
	s_clause 0x1
	global_load_b128 v[67:70], v26, s[16:17]
	global_load_b128 v[71:74], v26, s[16:17] offset:16
	v_lshlrev_b32_e32 v26, 8, v59
	s_delay_alu instid0(VALU_DEP_1) | instskip(NEXT) | instid1(VALU_DEP_1)
	v_add3_u32 v46, 0, v26, v39
	v_add_nc_u32_e32 v26, 0x1800, v46
	v_add_nc_u32_e32 v30, 0x2c00, v46
	;; [unrolled: 1-line block ×3, first 2 shown]
	ds_load_2addr_b64 v[31:34], v26 offset0:32 offset1:192
	ds_load_2addr_b64 v[75:78], v30 offset0:32 offset1:192
	v_add_nc_u32_e32 v29, 0x5e00, v46
	ds_load_2addr_b64 v[79:82], v27 offset0:32 offset1:192
	ds_load_2addr_b64 v[83:86], v29 offset0:32 offset1:192
	v_add_nc_u32_e32 v35, 0x7200, v46
	s_wait_loadcnt_dscnt 0x503
	v_mul_f32_e32 v37, v32, v2
	v_mul_f32_e32 v2, v31, v2
	s_wait_dscnt 0x2
	v_mul_f32_e32 v60, v78, v4
	s_delay_alu instid0(VALU_DEP_3) | instskip(NEXT) | instid1(VALU_DEP_3)
	v_dual_mul_f32 v4, v77, v4 :: v_dual_fmac_f32 v37, v31, v1
	v_fma_f32 v61, v32, v1, -v2
	v_add_nc_u32_e32 v32, 0x2200, v46
	s_delay_alu instid0(VALU_DEP_4) | instskip(NEXT) | instid1(VALU_DEP_4)
	v_fmac_f32_e32 v60, v77, v3
	v_fma_f32 v91, v78, v3, -v4
	s_wait_loadcnt 0x4
	v_mul_f32_e32 v95, v34, v10
	s_wait_loadcnt_dscnt 0x301
	v_mul_f32_e32 v92, v80, v6
	s_wait_dscnt 0x0
	v_dual_mul_f32 v6, v79, v6 :: v_dual_mul_f32 v93, v86, v8
	v_mul_f32_e32 v8, v85, v8
	v_mul_f32_e32 v10, v33, v10
	v_fmac_f32_e32 v92, v79, v5
	s_delay_alu instid0(VALU_DEP_4)
	v_fma_f32 v94, v80, v5, -v6
	v_fmac_f32_e32 v93, v85, v7
	v_fma_f32 v85, v86, v7, -v8
	ds_load_2addr_b64 v[5:8], v32 offset0:32 offset1:192
	v_dual_fmac_f32 v95, v33, v9 :: v_dual_add_nc_u32 v28, 0x3600, v46
	v_add_nc_u32_e32 v33, 0x5400, v46
	v_fma_f32 v96, v34, v9, -v10
	s_wait_loadcnt 0x2
	v_mul_f32_e32 v97, v82, v14
	s_delay_alu instid0(VALU_DEP_1)
	v_dual_fmac_f32 v97, v81, v13 :: v_dual_add_nc_u32 v34, 0x4000, v46
	s_wait_dscnt 0x0
	v_mul_f32_e32 v103, v8, v52
	ds_load_2addr_b64 v[87:90], v28 offset0:32 offset1:192
	v_add_nc_u32_e32 v31, 0x6800, v46
	s_wait_dscnt 0x0
	v_dual_fmac_f32 v103, v7, v51 :: v_dual_mul_f32 v86, v88, v12
	v_mul_f32_e32 v12, v87, v12
	ds_load_2addr_b64 v[1:4], v31 offset0:32 offset1:192
	v_fmac_f32_e32 v86, v87, v11
	v_fma_f32 v87, v88, v11, -v12
	ds_load_2addr_b64 v[9:12], v33 offset0:32 offset1:192
	s_wait_dscnt 0x1
	v_mul_f32_e32 v99, v4, v25
	s_wait_dscnt 0x0
	v_dual_mul_f32 v107, v12, v56 :: v_dual_mul_f32 v14, v81, v14
	v_mul_f32_e32 v81, v2, v16
	v_mul_f32_e32 v16, v1, v16
	v_fmac_f32_e32 v99, v3, v24
	s_delay_alu instid0(VALU_DEP_4)
	v_fmac_f32_e32 v107, v11, v55
	v_fma_f32 v82, v82, v13, -v14
	v_fmac_f32_e32 v81, v1, v15
	v_fma_f32 v98, v2, v15, -v16
	ds_load_2addr_b64 v[13:16], v35 offset0:32 offset1:192
	v_mul_f32_e32 v2, v5, v18
	v_mul_f32_e32 v1, v89, v20
	;; [unrolled: 1-line block ×4, first 2 shown]
	v_sub_f32_e32 v20, v61, v91
	v_fma_f32 v100, v6, v17, -v2
	v_mul_f32_e32 v2, v7, v52
	v_fma_f32 v90, v90, v19, -v1
	v_mul_f32_e32 v1, v3, v25
	v_fmac_f32_e32 v101, v9, v22
	v_fmac_f32_e32 v88, v89, v19
	v_fma_f32 v106, v8, v51, -v2
	v_mul_f32_e32 v2, v11, v56
	ds_load_b64 v[7:8], v46
	v_fma_f32 v102, v4, v24, -v1
	v_mul_f32_e32 v1, v9, v23
	v_mul_f32_e32 v89, v6, v18
	v_add_f32_e32 v11, v60, v92
	v_sub_f32_e32 v23, v94, v85
	s_wait_dscnt 0x1
	v_mul_f32_e32 v3, v13, v58
	v_fma_f32 v110, v12, v55, -v2
	s_wait_loadcnt 0x1
	v_mul_f32_e32 v55, v76, v68
	ds_load_2addr_b64 v[77:80], v34 offset0:32 offset1:192
	v_fma_f32 v105, v10, v22, -v1
	v_mul_f32_e32 v108, v14, v58
	s_wait_loadcnt 0x0
	v_mul_f32_e32 v10, v83, v72
	v_dual_mul_f32 v12, v15, v74 :: v_dual_fmac_f32 v89, v5, v17
	v_fma_f32 v111, v14, v57, -v3
	v_lshlrev_b32_e32 v2, 8, v62
	v_mul_f32_e32 v58, v16, v74
	v_sub_f32_e32 v17, v60, v37
	v_fma_f32 v56, v84, v71, -v10
	s_wait_dscnt 0x1
	v_add_f32_e32 v9, v7, v37
	v_fmac_f32_e32 v108, v13, v57
	v_fma_f32 v57, v16, v73, -v12
	v_sub_f32_e32 v16, v91, v94
	v_add_f32_e32 v10, v37, v93
	v_dual_add_f32 v13, v9, v60 :: v_dual_lshlrev_b32 v4, 8, v65
	v_fma_f32 v9, -0.5, v11, v7
	s_wait_dscnt 0x0
	v_dual_mul_f32 v104, v78, v54 :: v_dual_lshlrev_b32 v3, 8, v63
	v_mul_f32_e32 v1, v77, v54
	v_fma_f32 v7, -0.5, v10, v7
	v_sub_f32_e32 v14, v61, v85
	v_mul_f32_e32 v54, v84, v72
	v_fmac_f32_e32 v58, v15, v73
	v_add_f32_e32 v12, v13, v92
	v_sub_f32_e32 v13, v37, v60
	s_delay_alu instid0(VALU_DEP_4)
	v_dual_fmamk_f32 v11, v14, 0xbf737871, v9 :: v_dual_fmac_f32 v54, v83, v71
	v_sub_f32_e32 v15, v93, v92
	v_fma_f32 v109, v78, v53, -v1
	v_mul_f32_e32 v1, v75, v68
	v_add3_u32 v36, 0, v2, v39
	v_add3_u32 v25, 0, v3, v39
	v_add_f32_e32 v19, v13, v15
	v_fmamk_f32 v13, v16, 0x3f737871, v7
	v_fmac_f32_e32 v9, 0x3f737871, v14
	v_fma_f32 v51, v76, v67, -v1
	v_mul_f32_e32 v1, v79, v70
	v_add3_u32 v24, 0, v4, v39
	v_fmac_f32_e32 v13, 0xbf167918, v14
	v_add_f32_e32 v15, v12, v93
	v_dual_sub_f32 v18, v92, v93 :: v_dual_fmac_f32 v9, 0x3f167918, v16
	v_dual_fmac_f32 v11, 0xbf167918, v16 :: v_dual_add_f32 v10, v91, v94
	s_delay_alu instid0(VALU_DEP_2) | instskip(NEXT) | instid1(VALU_DEP_3)
	v_dual_add_f32 v12, v8, v61 :: v_dual_add_f32 v17, v17, v18
	v_dual_sub_f32 v18, v37, v93 :: v_dual_fmac_f32 v9, 0x3e9e377a, v19
	s_delay_alu instid0(VALU_DEP_3) | instskip(NEXT) | instid1(VALU_DEP_4)
	v_fmac_f32_e32 v11, 0x3e9e377a, v19
	v_fma_f32 v10, -0.5, v10, v8
	v_fmac_f32_e32 v7, 0xbf737871, v16
	v_fma_f32 v52, v80, v69, -v1
	ds_load_b64 v[5:6], v36
	ds_load_b64 v[3:4], v25
	;; [unrolled: 1-line block ×3, first 2 shown]
	v_dual_fmac_f32 v13, 0x3e9e377a, v17 :: v_dual_add_f32 v16, v12, v91
	v_dual_fmamk_f32 v12, v18, 0x3f737871, v10 :: v_dual_sub_f32 v19, v60, v92
	v_dual_fmac_f32 v7, 0x3f167918, v14 :: v_dual_add_f32 v14, v61, v85
	v_sub_f32_e32 v22, v85, v94
	s_delay_alu instid0(VALU_DEP_4) | instskip(NEXT) | instid1(VALU_DEP_4)
	v_add_f32_e32 v16, v16, v94
	v_fmac_f32_e32 v12, 0x3f167918, v19
	s_delay_alu instid0(VALU_DEP_4) | instskip(NEXT) | instid1(VALU_DEP_4)
	v_fmac_f32_e32 v7, 0x3e9e377a, v17
	v_dual_add_f32 v17, v86, v97 :: v_dual_add_f32 v20, v20, v22
	v_sub_f32_e32 v22, v91, v61
	v_add_f32_e32 v16, v16, v85
	v_sub_f32_e32 v37, v96, v98
	v_fmac_f32_e32 v55, v75, v67
	v_sub_f32_e32 v61, v86, v95
	v_dual_add_f32 v22, v22, v23 :: v_dual_sub_f32 v23, v87, v82
	v_fmac_f32_e32 v8, -0.5, v14
	s_wait_dscnt 0x2
	v_fma_f32 v17, -0.5, v17, v5
	v_dual_fmac_f32 v10, 0xbf737871, v18 :: v_dual_sub_f32 v67, v97, v81
	v_dual_fmac_f32 v104, v77, v53 :: v_dual_mul_f32 v53, v80, v70
	v_fmamk_f32 v14, v19, 0xbf737871, v8
	v_fmac_f32_e32 v8, 0x3f737871, v19
	s_delay_alu instid0(VALU_DEP_4) | instskip(SKIP_1) | instid1(VALU_DEP_4)
	v_fmac_f32_e32 v10, 0xbf167918, v19
	v_dual_add_f32 v19, v5, v95 :: v_dual_fmac_f32 v12, 0x3e9e377a, v20
	v_dual_fmac_f32 v14, 0x3f167918, v18 :: v_dual_add_f32 v61, v61, v67
	s_delay_alu instid0(VALU_DEP_4) | instskip(NEXT) | instid1(VALU_DEP_2)
	v_dual_fmac_f32 v8, 0xbf167918, v18 :: v_dual_sub_f32 v67, v95, v81
	v_dual_fmac_f32 v53, v79, v69 :: v_dual_fmac_f32 v14, 0x3e9e377a, v22
	s_delay_alu instid0(VALU_DEP_2) | instskip(SKIP_4) | instid1(VALU_DEP_4)
	v_dual_sub_f32 v69, v96, v87 :: v_dual_fmac_f32 v8, 0x3e9e377a, v22
	v_add_f32_e32 v22, v95, v81
	v_fmac_f32_e32 v10, 0x3e9e377a, v20
	v_dual_sub_f32 v60, v81, v97 :: v_dual_sub_f32 v71, v98, v82
	v_sub_f32_e32 v74, v90, v105
	v_fma_f32 v5, -0.5, v22, v5
	v_dual_add_f32 v18, v19, v86 :: v_dual_fmamk_f32 v19, v37, 0xbf737871, v17
	v_fmac_f32_e32 v17, 0x3f737871, v37
	v_add_f32_e32 v72, v88, v101
	s_delay_alu instid0(VALU_DEP_4) | instskip(NEXT) | instid1(VALU_DEP_4)
	v_fmamk_f32 v22, v23, 0x3f737871, v5
	v_dual_fmac_f32 v5, 0xbf737871, v23 :: v_dual_add_f32 v20, v18, v97
	v_dual_fmac_f32 v19, 0xbf167918, v23 :: v_dual_sub_f32 v18, v95, v86
	v_fmac_f32_e32 v17, 0x3f167918, v23
	s_delay_alu instid0(VALU_DEP_3) | instskip(SKIP_1) | instid1(VALU_DEP_4)
	v_fmac_f32_e32 v5, 0x3f167918, v37
	v_dual_add_f32 v23, v6, v96 :: v_dual_fmac_f32 v22, 0xbf167918, v37
	v_add_f32_e32 v68, v18, v60
	v_add_f32_e32 v18, v87, v82
	;; [unrolled: 1-line block ×4, first 2 shown]
	v_dual_add_f32 v20, v23, v87 :: v_dual_fmac_f32 v5, 0x3e9e377a, v61
	s_delay_alu instid0(VALU_DEP_4) | instskip(SKIP_2) | instid1(VALU_DEP_4)
	v_fma_f32 v18, -0.5, v18, v6
	v_fmac_f32_e32 v19, 0x3e9e377a, v68
	v_fmac_f32_e32 v17, 0x3e9e377a, v68
	v_dual_add_f32 v23, v20, v82 :: v_dual_sub_f32 v68, v86, v97
	v_fmac_f32_e32 v6, -0.5, v37
	v_lshlrev_b32_e32 v70, 8, v66
	v_fmac_f32_e32 v22, 0x3e9e377a, v61
	v_fmamk_f32 v20, v67, 0x3f737871, v18
	v_add_f32_e32 v61, v23, v98
	v_add_f32_e32 v37, v69, v71
	s_wait_dscnt 0x1
	v_dual_fmac_f32 v18, 0xbf737871, v67 :: v_dual_add_f32 v73, v3, v89
	v_fmamk_f32 v23, v68, 0xbf737871, v6
	v_sub_f32_e32 v69, v87, v96
	v_sub_f32_e32 v71, v82, v98
	;; [unrolled: 1-line block ×3, first 2 shown]
	v_add_f32_e32 v73, v73, v88
	v_dual_fmac_f32 v23, 0x3f167918, v67 :: v_dual_fmac_f32 v20, 0x3f167918, v68
	v_fmac_f32_e32 v6, 0x3f737871, v68
	v_fmac_f32_e32 v18, 0xbf167918, v68
	v_add_f32_e32 v68, v69, v71
	s_delay_alu instid0(VALU_DEP_4) | instskip(NEXT) | instid1(VALU_DEP_3)
	v_dual_add_f32 v71, v89, v99 :: v_dual_fmac_f32 v20, 0x3e9e377a, v37
	v_dual_sub_f32 v77, v89, v99 :: v_dual_fmac_f32 v18, 0x3e9e377a, v37
	v_dual_sub_f32 v37, v89, v88 :: v_dual_fmac_f32 v6, 0xbf167918, v67
	v_fma_f32 v67, -0.5, v72, v3
	v_sub_f32_e32 v72, v100, v102
	v_fma_f32 v3, -0.5, v71, v3
	v_dual_sub_f32 v78, v100, v90 :: v_dual_sub_f32 v79, v102, v105
	s_delay_alu instid0(VALU_DEP_3) | instskip(SKIP_1) | instid1(VALU_DEP_4)
	v_dual_sub_f32 v80, v105, v102 :: v_dual_fmamk_f32 v69, v72, 0xbf737871, v67
	v_fmac_f32_e32 v67, 0x3f737871, v72
	v_fmamk_f32 v71, v74, 0x3f737871, v3
	s_wait_dscnt 0x0
	v_dual_add_f32 v83, v1, v103 :: v_dual_add_f32 v84, v2, v106
	v_dual_sub_f32 v81, v108, v107 :: v_dual_add_f32 v82, v103, v108
	s_delay_alu instid0(VALU_DEP_3)
	v_fmac_f32_e32 v71, 0xbf167918, v72
	v_fmac_f32_e32 v69, 0xbf167918, v74
	;; [unrolled: 1-line block ×5, first 2 shown]
	v_dual_sub_f32 v68, v99, v101 :: v_dual_fmac_f32 v3, 0xbf737871, v74
	v_dual_add_f32 v76, v90, v105 :: v_dual_add_f32 v83, v83, v104
	v_sub_f32_e32 v87, v104, v107
	s_delay_alu instid0(VALU_DEP_3) | instskip(NEXT) | instid1(VALU_DEP_4)
	v_add_f32_e32 v37, v37, v68
	v_dual_fmac_f32 v3, 0x3f167918, v72 :: v_dual_sub_f32 v68, v88, v89
	v_sub_f32_e32 v89, v111, v110
	v_dual_sub_f32 v86, v103, v108 :: v_dual_sub_f32 v91, v58, v54
	s_delay_alu instid0(VALU_DEP_4)
	v_fmac_f32_e32 v69, 0x3e9e377a, v37
	v_fmac_f32_e32 v67, 0x3e9e377a, v37
	v_add_f32_e32 v75, v68, v75
	v_add3_u32 v37, 0, v70, v39
	v_add_f32_e32 v70, v73, v101
	v_fma_f32 v68, -0.5, v76, v4
	s_delay_alu instid0(VALU_DEP_4) | instskip(SKIP_1) | instid1(VALU_DEP_3)
	v_dual_add_f32 v76, v4, v100 :: v_dual_fmac_f32 v71, 0x3e9e377a, v75
	v_fmac_f32_e32 v3, 0x3e9e377a, v75
	v_dual_add_f32 v73, v70, v99 :: v_dual_fmamk_f32 v70, v77, 0x3f737871, v68
	v_add_f32_e32 v75, v104, v107
	s_delay_alu instid0(VALU_DEP_4)
	v_add_f32_e32 v74, v76, v90
	v_sub_f32_e32 v76, v88, v101
	v_fmac_f32_e32 v68, 0xbf737871, v77
	v_sub_f32_e32 v88, v106, v109
	v_fma_f32 v75, -0.5, v75, v1
	v_add_f32_e32 v72, v74, v105
	v_add_f32_e32 v74, v100, v102
	v_fmac_f32_e32 v70, 0x3f167918, v76
	v_add_f32_e32 v78, v78, v79
	v_fmac_f32_e32 v68, 0xbf167918, v76
	v_sub_f32_e32 v79, v90, v100
	v_fma_f32 v1, -0.5, v82, v1
	s_delay_alu instid0(VALU_DEP_4) | instskip(NEXT) | instid1(VALU_DEP_4)
	v_dual_sub_f32 v95, v57, v56 :: v_dual_fmac_f32 v70, 0x3e9e377a, v78
	v_fmac_f32_e32 v68, 0x3e9e377a, v78
	s_delay_alu instid0(VALU_DEP_4)
	v_add_f32_e32 v78, v79, v80
	v_dual_sub_f32 v80, v109, v110 :: v_dual_sub_f32 v79, v103, v104
	v_fmac_f32_e32 v4, -0.5, v74
	v_add_f32_e32 v74, v72, v102
	v_add_lshl_u32 v40, v40, v44, 8
	v_and_b32_e32 v44, 0xffff, v45
	s_delay_alu instid0(VALU_DEP_4)
	v_dual_add_f32 v79, v79, v81 :: v_dual_fmamk_f32 v72, v76, 0xbf737871, v4
	v_sub_f32_e32 v81, v107, v108
	v_fmac_f32_e32 v4, 0x3f737871, v76
	v_sub_f32_e32 v76, v106, v111
	v_add3_u32 v40, 0, v40, v39
	v_fmac_f32_e32 v72, 0x3f167918, v77
	s_delay_alu instid0(VALU_DEP_4) | instskip(NEXT) | instid1(VALU_DEP_4)
	v_fmac_f32_e32 v4, 0xbf167918, v77
	v_fmamk_f32 v77, v76, 0xbf737871, v75
	v_fmac_f32_e32 v75, 0x3f737871, v76
	v_add_nc_u32_e32 v45, 0x800, v40
	s_delay_alu instid0(VALU_DEP_3) | instskip(NEXT) | instid1(VALU_DEP_3)
	v_fmac_f32_e32 v77, 0xbf167918, v80
	v_fmac_f32_e32 v75, 0x3f167918, v80
	s_delay_alu instid0(VALU_DEP_2) | instskip(NEXT) | instid1(VALU_DEP_2)
	v_fmac_f32_e32 v77, 0x3e9e377a, v79
	v_fmac_f32_e32 v75, 0x3e9e377a, v79
	v_fmamk_f32 v79, v80, 0x3f737871, v1
	v_dual_fmac_f32 v1, 0xbf737871, v80 :: v_dual_add_f32 v80, v109, v110
	s_delay_alu instid0(VALU_DEP_2) | instskip(SKIP_1) | instid1(VALU_DEP_3)
	v_fmac_f32_e32 v79, 0xbf167918, v76
	v_fmac_f32_e32 v4, 0x3e9e377a, v78
	v_fmac_f32_e32 v1, 0x3f167918, v76
	s_delay_alu instid0(VALU_DEP_4) | instskip(SKIP_3) | instid1(VALU_DEP_2)
	v_fma_f32 v76, -0.5, v80, v2
	v_add_f32_e32 v80, v83, v107
	v_dual_fmac_f32 v72, 0x3e9e377a, v78 :: v_dual_add_f32 v83, v84, v109
	v_sub_f32_e32 v78, v104, v103
	v_dual_add_f32 v84, v106, v111 :: v_dual_add_f32 v85, v83, v110
	s_delay_alu instid0(VALU_DEP_2)
	v_add_f32_e32 v78, v78, v81
	ds_load_b64 v[81:82], v37
	v_fmac_f32_e32 v2, -0.5, v84
	global_wb scope:SCOPE_SE
	s_wait_dscnt 0x0
	v_dual_add_f32 v84, v85, v111 :: v_dual_fmac_f32 v1, 0x3e9e377a, v78
	v_add_f32_e32 v83, v80, v108
	v_dual_add_f32 v85, v88, v89 :: v_dual_fmamk_f32 v80, v87, 0xbf737871, v2
	v_dual_sub_f32 v88, v109, v106 :: v_dual_sub_f32 v89, v110, v111
	v_fmac_f32_e32 v2, 0x3f737871, v87
	v_fmac_f32_e32 v79, 0x3e9e377a, v78
	v_fmamk_f32 v78, v86, 0x3f737871, v76
	v_fmac_f32_e32 v80, 0x3f167918, v86
	v_add_f32_e32 v88, v88, v89
	v_dual_sub_f32 v89, v55, v53 :: v_dual_fmac_f32 v76, 0xbf737871, v86
	v_fmac_f32_e32 v2, 0xbf167918, v86
	s_barrier_signal -1
	s_delay_alu instid0(VALU_DEP_3)
	v_dual_fmac_f32 v80, 0x3e9e377a, v88 :: v_dual_add_f32 v93, v81, v55
	v_fmac_f32_e32 v78, 0x3f167918, v87
	v_add_f32_e32 v89, v89, v91
	v_dual_sub_f32 v91, v54, v58 :: v_dual_fmac_f32 v76, 0xbf167918, v87
	v_add_f32_e32 v90, v53, v54
	v_fmac_f32_e32 v2, 0x3e9e377a, v88
	v_sub_f32_e32 v88, v53, v55
	v_fmac_f32_e32 v78, 0x3e9e377a, v85
	s_barrier_wait -1
	global_inv scope:SCOPE_SE
	ds_store_2addr_b64 v40, v[15:16], v[11:12] offset1:160
	v_dual_add_f32 v88, v88, v91 :: v_dual_add_f32 v91, v93, v53
	v_fmac_f32_e32 v76, 0x3e9e377a, v85
	v_fma_f32 v85, -0.5, v90, v81
	v_sub_f32_e32 v90, v51, v57
	v_add_f32_e32 v92, v55, v58
	v_sub_f32_e32 v86, v52, v56
	v_add_lshl_u32 v11, v41, v43, 8
	ds_store_2addr_b64 v45, v[13:14], v[7:8] offset0:64 offset1:224
	v_fmamk_f32 v87, v90, 0xbf737871, v85
	v_fmac_f32_e32 v85, 0x3f737871, v90
	v_fma_f32 v81, -0.5, v92, v81
	v_dual_add_f32 v92, v82, v51 :: v_dual_and_b32 v7, 0xffff, v50
	s_delay_alu instid0(VALU_DEP_4) | instskip(NEXT) | instid1(VALU_DEP_4)
	v_fmac_f32_e32 v87, 0xbf167918, v86
	v_fmac_f32_e32 v85, 0x3f167918, v86
	v_add3_u32 v8, 0, v11, v39
	v_and_b32_e32 v12, 0xffff, v47
	v_mul_u32_u24_e32 v15, 25, v44
	v_fmac_f32_e32 v87, 0x3e9e377a, v89
	v_fmac_f32_e32 v85, 0x3e9e377a, v89
	v_fmamk_f32 v89, v86, 0x3f737871, v81
	v_mul_u32_u24_e32 v7, 25, v7
	v_mul_u32_u24_e32 v11, 25, v12
	v_add_lshl_u32 v12, v15, v42, 8
	v_sub_f32_e32 v55, v55, v58
	v_fmac_f32_e32 v89, 0xbf167918, v90
	v_dual_fmac_f32 v81, 0xbf737871, v86 :: v_dual_add_f32 v86, v52, v56
	v_add_lshl_u32 v7, v7, v49, 8
	ds_store_b64 v40, v[9:10] offset:5120
	v_fmac_f32_e32 v89, 0x3e9e377a, v88
	v_fmac_f32_e32 v81, 0x3f167918, v90
	v_dual_add_f32 v90, v91, v54 :: v_dual_add_nc_u32 v9, 0x800, v8
	v_dual_add_f32 v91, v92, v52 :: v_dual_add_f32 v92, v51, v57
	v_fma_f32 v86, -0.5, v86, v82
	v_add_lshl_u32 v10, v11, v48, 8
	v_add3_u32 v11, 0, v12, v39
	v_add3_u32 v7, 0, v7, v39
	v_dual_sub_f32 v94, v51, v52 :: v_dual_sub_f32 v51, v52, v51
	v_dual_sub_f32 v52, v56, v57 :: v_dual_sub_f32 v93, v53, v54
	v_fmac_f32_e32 v82, -0.5, v92
	ds_store_2addr_b64 v9, v[22:23], v[5:6] offset0:64 offset1:224
	v_dual_add_f32 v51, v51, v52 :: v_dual_add_nc_u32 v6, 0x800, v11
	v_fmac_f32_e32 v81, 0x3e9e377a, v88
	v_dual_fmamk_f32 v88, v55, 0x3f737871, v86 :: v_dual_add_f32 v53, v90, v58
	v_fmamk_f32 v90, v93, 0xbf737871, v82
	v_fmac_f32_e32 v82, 0x3f737871, v93
	v_fmac_f32_e32 v86, 0xbf737871, v55
	v_add3_u32 v5, 0, v10, v39
	v_dual_add_f32 v91, v91, v56 :: v_dual_fmac_f32 v88, 0x3f167918, v93
	ds_store_2addr_b64 v8, v[60:61], v[19:20] offset1:160
	ds_store_b64 v8, v[17:18] offset:5120
	ds_store_2addr_b64 v11, v[73:74], v[69:70] offset1:160
	ds_store_2addr_b64 v6, v[71:72], v[3:4] offset0:64 offset1:224
	ds_store_b64 v11, v[67:68] offset:5120
	v_add_nc_u32_e32 v3, 0x800, v7
	v_add_f32_e32 v58, v94, v95
	v_fmac_f32_e32 v90, 0x3f167918, v55
	v_fmac_f32_e32 v82, 0xbf167918, v55
	v_fmac_f32_e32 v86, 0xbf167918, v93
	v_add_nc_u32_e32 v8, 0x800, v5
	v_add_f32_e32 v54, v91, v57
	v_fmac_f32_e32 v88, 0x3e9e377a, v58
	v_fmac_f32_e32 v90, 0x3e9e377a, v51
	;; [unrolled: 1-line block ×4, first 2 shown]
	ds_store_2addr_b64 v5, v[83:84], v[77:78] offset1:160
	ds_store_2addr_b64 v8, v[79:80], v[1:2] offset0:64 offset1:224
	ds_store_b64 v5, v[75:76] offset:5120
	ds_store_2addr_b64 v7, v[53:54], v[87:88] offset1:160
	ds_store_2addr_b64 v3, v[89:90], v[81:82] offset0:64 offset1:224
	ds_store_b64 v7, v[85:86] offset:5120
	global_wb scope:SCOPE_SE
	s_wait_dscnt 0x0
	s_barrier_signal -1
	s_barrier_wait -1
	global_inv scope:SCOPE_SE
	s_and_saveexec_b32 s5, s3
	s_cbranch_execz .LBB0_58
; %bb.57:
	v_cmp_gt_u32_e32 vcc_lo, 0x140, v0
	v_mul_lo_u16 v8, v38, 41
	v_subrev_nc_u32_e32 v38, 20, v59
	v_add_nc_u32_e32 v1, -10, v59
	v_add_nc_u32_e32 v7, -15, v59
	s_load_b64 s[18:19], s[0:1], 0x8
	v_lshrrev_b16 v67, 10, v8
	s_load_b64 s[0:1], s[0:1], 0x60
	v_cndmask_b32_e32 v9, v1, v65, vcc_lo
	v_mov_b32_e32 v23, 0
	v_mul_lo_u32 v64, s6, v64
	v_mul_lo_u16 v15, v67, 25
	s_mul_i32 s3, s6, s14
	v_lshlrev_b32_e32 v22, 2, v9
	s_mul_i32 s2, s8, s2
	s_delay_alu instid0(VALU_DEP_2) | instskip(SKIP_1) | instid1(VALU_DEP_2)
	v_sub_nc_u16 v19, v66, v15
	s_add_co_i32 s2, s2, s3
	v_lshlrev_b64_e32 v[1:2], 3, v[22:23]
	s_mul_i32 s3, s10, s12
	s_delay_alu instid0(SALU_CYCLE_1) | instskip(NEXT) | instid1(VALU_DEP_1)
	s_add_co_i32 s2, s3, s2
	v_add_co_u32 v5, vcc_lo, s16, v1
	s_wait_alu 0xfffd
	s_delay_alu instid0(VALU_DEP_2)
	v_add_co_ci_u32_e32 v6, vcc_lo, s17, v2, vcc_lo
	v_cmp_gt_u32_e32 vcc_lo, 0x1e0, v0
	global_load_b128 v[1:4], v[5:6], off offset:160
	s_wait_alu 0xfffd
	v_cndmask_b32_e32 v10, v7, v63, vcc_lo
	v_mul_lo_u32 v13, v21, v9
	global_load_b128 v[5:8], v[5:6], off offset:176
	v_mul_lo_u32 v14, v21, v10
	v_lshlrev_b32_e32 v22, 2, v10
	v_add_nc_u32_e32 v48, 0x64, v10
	v_and_b32_e32 v11, 0xff, v13
	v_lshrrev_b32_e32 v12, 5, v13
	v_lshrrev_b32_e32 v13, 13, v13
	s_delay_alu instid0(VALU_DEP_4)
	v_mul_lo_u32 v132, v21, v48
	v_and_b32_e32 v17, 0xff, v14
	v_lshlrev_b32_e32 v11, 3, v11
	v_and_b32_e32 v12, 0x7f8, v12
	s_wait_kmcnt 0x0
	s_clause 0x1
	global_load_b64 v[15:16], v11, s[18:19]
	global_load_b64 v[43:44], v12, s[18:19] offset:2048
	v_lshrrev_b32_e32 v18, 5, v14
	v_lshlrev_b32_e32 v11, 3, v17
	v_and_b32_e32 v53, 0xff, v19
	v_lshrrev_b32_e32 v48, 5, v132
	v_lshrrev_b32_e32 v14, 13, v14
	v_and_b32_e32 v12, 0x7f8, v18
	s_clause 0x1
	global_load_b64 v[51:52], v11, s[18:19]
	global_load_b64 v[68:69], v12, s[18:19] offset:2048
	v_add_nc_u32_e32 v49, 0x4b, v10
	s_delay_alu instid0(VALU_DEP_1) | instskip(SKIP_3) | instid1(VALU_DEP_2)
	v_mul_lo_u32 v133, v21, v49
	s_wait_loadcnt 0x2
	v_dual_mul_f32 v144, v15, v44 :: v_dual_lshlrev_b32 v11, 5, v53
	v_mul_lo_u32 v135, v21, v53
	v_fmac_f32_e32 v144, v16, v43
	s_clause 0x1
	global_load_b128 v[17:20], v11, s[16:17] offset:160
	global_load_b128 v[39:42], v11, s[16:17] offset:176
	v_lshlrev_b64_e32 v[11:12], 3, v[22:23]
	v_add_nc_u32_e32 v22, 0x64, v9
	s_delay_alu instid0(VALU_DEP_2) | instskip(SKIP_1) | instid1(VALU_DEP_3)
	v_add_co_u32 v11, vcc_lo, s16, v11
	s_wait_alu 0xfffd
	v_add_co_ci_u32_e32 v12, vcc_lo, s17, v12, vcc_lo
	s_delay_alu instid0(VALU_DEP_3)
	v_mul_lo_u32 v45, v21, v22
	v_cmp_gt_u32_e32 vcc_lo, 0x280, v0
	s_clause 0x1
	global_load_b128 v[54:57], v[11:12], off offset:160
	global_load_b128 v[71:74], v[11:12], off offset:176
	v_add_nc_u32_e32 v11, 0x4b, v9
	v_add_nc_u32_e32 v12, 50, v9
	;; [unrolled: 1-line block ×3, first 2 shown]
	v_lshrrev_b32_e32 v22, 5, v45
	s_wait_alu 0xfffd
	v_cndmask_b32_e32 v38, v38, v62, vcc_lo
	v_mul_lo_u32 v47, v21, v11
	v_and_b32_e32 v11, 0xff, v45
	v_mul_lo_u32 v78, v21, v12
	v_and_b32_e32 v22, 0x7f8, v22
	v_mul_lo_u32 v131, v21, v9
	v_lshrrev_b32_e32 v45, 13, v45
	v_lshlrev_b32_e32 v11, 3, v11
	s_clause 0x1
	global_load_b64 v[76:77], v11, s[18:19]
	global_load_b64 v[91:92], v22, s[18:19] offset:2048
	v_and_b32_e32 v50, 0xff, v47
	v_lshrrev_b32_e32 v58, 5, v47
	v_add_nc_u32_e32 v22, 50, v10
	v_add_nc_u32_e32 v10, 25, v10
	v_and_b32_e32 v9, 0xff, v78
	v_lshlrev_b32_e32 v11, 3, v50
	v_and_b32_e32 v12, 0x7f8, v58
	s_clause 0x1
	global_load_b64 v[93:94], v11, s[18:19]
	global_load_b64 v[95:96], v12, s[18:19] offset:2048
	v_lshrrev_b32_e32 v11, 5, v78
	v_mul_lo_u32 v134, v21, v10
	v_and_b32_e32 v10, 0xff, v131
	v_lshlrev_b32_e32 v9, 3, v9
	v_lshrrev_b32_e32 v12, 5, v131
	v_and_b32_e32 v11, 0x7f8, v11
	v_mul_lo_u32 v70, v21, v22
	v_and_b32_e32 v22, 0xff, v132
	s_clause 0x1
	global_load_b64 v[97:98], v9, s[18:19]
	global_load_b64 v[99:100], v11, s[18:19] offset:2048
	v_lshlrev_b32_e32 v9, 3, v10
	v_and_b32_e32 v11, 0xff, v133
	v_and_b32_e32 v10, 0x7f8, v12
	v_lshrrev_b32_e32 v12, 5, v133
	s_clause 0x1
	global_load_b64 v[101:102], v9, s[18:19]
	global_load_b64 v[103:104], v10, s[18:19] offset:2048
	v_lshlrev_b32_e32 v9, 3, v22
	v_lshlrev_b32_e32 v11, 3, v11
	v_and_b32_e32 v10, 0x7f8, v48
	v_and_b32_e32 v12, 0x7f8, v12
	s_clause 0x3
	global_load_b64 v[105:106], v9, s[18:19]
	global_load_b64 v[107:108], v10, s[18:19] offset:2048
	global_load_b64 v[109:110], v11, s[18:19]
	global_load_b64 v[111:112], v12, s[18:19] offset:2048
	v_and_b32_e32 v49, 0xff, v70
	v_lshrrev_b32_e32 v48, 5, v70
	v_and_b32_e32 v9, 0xff, v134
	v_lshrrev_b32_e32 v10, 5, v134
	v_lshlrev_b32_e32 v22, 2, v38
	v_lshlrev_b32_e32 v11, 3, v49
	v_and_b32_e32 v12, 0x7f8, v48
	v_lshlrev_b32_e32 v48, 3, v9
	v_and_b32_e32 v49, 0x7f8, v10
	v_lshlrev_b64_e32 v[9:10], 3, v[22:23]
	s_clause 0x3
	global_load_b64 v[113:114], v11, s[18:19]
	global_load_b64 v[115:116], v12, s[18:19] offset:2048
	global_load_b64 v[117:118], v48, s[18:19]
	global_load_b64 v[119:120], v49, s[18:19] offset:2048
	v_subrev_nc_u32_e32 v11, 25, v59
	v_lshrrev_b32_e32 v48, 5, v135
	v_lshrrev_b32_e32 v47, 13, v47
	v_and_b32_e32 v45, 0x7f8, v45
	v_add_co_u32 v9, vcc_lo, s16, v9
	s_wait_alu 0xfffd
	v_add_co_ci_u32_e32 v10, vcc_lo, s17, v10, vcc_lo
	v_cmp_gt_u32_e32 vcc_lo, 0x320, v0
	v_and_b32_e32 v48, 0x7f8, v48
	global_load_b128 v[79:82], v[9:10], off offset:160
	s_wait_alu 0xfffd
	v_cndmask_b32_e32 v75, v11, v59, vcc_lo
	global_load_b128 v[58:61], v[9:10], off offset:176
	v_lshlrev_b32_e32 v22, 2, v75
	s_delay_alu instid0(VALU_DEP_1) | instskip(SKIP_1) | instid1(VALU_DEP_2)
	v_lshlrev_b64_e32 v[11:12], 3, v[22:23]
	v_and_b32_e32 v22, 0xff, v135
	v_add_co_u32 v121, vcc_lo, s16, v11
	s_wait_alu 0xfffd
	s_delay_alu instid0(VALU_DEP_3) | instskip(NEXT) | instid1(VALU_DEP_3)
	v_add_co_ci_u32_e32 v122, vcc_lo, s17, v12, vcc_lo
	v_lshlrev_b32_e32 v22, 3, v22
	v_cmp_lt_u32_e32 vcc_lo, 0x31f, v0
	global_load_b128 v[9:12], v[121:122], off offset:160
	s_clause 0x1
	global_load_b64 v[123:124], v22, s[18:19]
	global_load_b64 v[125:126], v48, s[18:19] offset:2048
	v_and_b32_e32 v22, 0x7f8, v47
	s_clause 0x1
	global_load_b64 v[127:128], v22, s[18:19] offset:4096
	global_load_b64 v[129:130], v45, s[18:19] offset:4096
	ds_load_2addr_b64 v[83:86], v32 offset0:32 offset1:192
	ds_load_2addr_b64 v[47:50], v34 offset0:32 offset1:192
	;; [unrolled: 1-line block ×4, first 2 shown]
	s_wait_dscnt 0x3
	v_mul_f32_e32 v22, v85, v2
	s_wait_dscnt 0x2
	v_dual_mul_f32 v136, v86, v2 :: v_dual_mul_f32 v45, v47, v4
	v_dual_mul_f32 v137, v48, v4 :: v_dual_and_b32 v2, 0x7f8, v13
	s_delay_alu instid0(VALU_DEP_3) | instskip(SKIP_1) | instid1(VALU_DEP_3)
	v_fma_f32 v138, v86, v1, -v22
	s_wait_dscnt 0x1
	v_dual_fmac_f32 v136, v85, v1 :: v_dual_mul_f32 v1, v87, v8
	v_and_b32_e32 v4, 0x7f8, v14
	v_fma_f32 v139, v48, v3, -v45
	v_fmac_f32_e32 v137, v47, v3
	s_wait_dscnt 0x0
	v_mul_f32_e32 v3, v34, v6
	v_fma_f32 v142, v88, v7, -v1
	v_mul_f32_e32 v1, v16, v44
	v_mul_f32_e32 v141, v35, v6
	global_load_b64 v[44:45], v4, s[18:19] offset:4096
	v_fma_f32 v143, v35, v5, -v3
	v_mul_f32_e32 v140, v88, v8
	v_fma_f32 v145, v15, v43, -v1
	s_wait_loadcnt 0x1c
	v_mul_f32_e32 v1, v52, v69
	ds_load_2addr_b64 v[13:16], v30 offset0:32 offset1:192
	v_fmac_f32_e32 v141, v34, v5
	global_load_b64 v[34:35], v2, s[18:19] offset:4096
	v_fmac_f32_e32 v140, v87, v7
	v_fma_f32 v48, v51, v68, -v1
	v_mul_f32_e32 v22, v51, v69
	s_delay_alu instid0(VALU_DEP_1)
	v_fmac_f32_e32 v22, v52, v68
	s_wait_loadcnt 0x1c
	v_mul_f32_e32 v1, v49, v20
	s_wait_dscnt 0x0
	v_mul_f32_e32 v5, v13, v18
	s_wait_loadcnt 0x1b
	v_mul_f32_e32 v150, v90, v42
	v_mul_f32_e32 v146, v50, v20
	;; [unrolled: 1-line block ×3, first 2 shown]
	v_fma_f32 v147, v50, v19, -v1
	ds_load_2addr_b64 v[1:4], v29 offset0:32 offset1:192
	v_fma_f32 v149, v14, v17, -v5
	v_mul_f32_e32 v5, v89, v42
	v_fmac_f32_e32 v150, v89, v41
	v_fmac_f32_e32 v146, v49, v19
	;; [unrolled: 1-line block ×3, first 2 shown]
	ds_load_2addr_b64 v[17:20], v28 offset0:32 offset1:192
	v_fma_f32 v152, v90, v41, -v5
	v_lshrrev_b32_e32 v13, 13, v131
	s_wait_loadcnt 0x1a
	v_mul_f32_e32 v49, v84, v55
	s_wait_dscnt 0x1
	s_delay_alu instid0(VALU_DEP_1)
	v_dual_fmac_f32 v49, v83, v54 :: v_dual_mul_f32 v6, v1, v40
	v_mul_f32_e32 v151, v2, v40
	ds_load_2addr_b64 v[40:43], v31 offset0:32 offset1:192
	ds_load_2addr_b64 v[28:31], v26 offset0:32 offset1:192
	v_lshrrev_b32_e32 v26, 13, v132
	v_fma_f32 v153, v2, v39, -v6
	v_fmac_f32_e32 v151, v1, v39
	v_mul_f32_e32 v1, v83, v55
	v_lshrrev_b32_e32 v2, 13, v70
	s_wait_loadcnt 0x17
	v_dual_mul_f32 v14, v77, v92 :: v_dual_add_nc_u32 v39, 25, v53
	v_mul_f32_e32 v92, v76, v92
	v_fma_f32 v50, v84, v54, -v1
	v_mul_f32_e32 v1, v32, v72
	v_mul_f32_e32 v54, v33, v72
	v_fma_f32 v76, v76, v91, -v14
	v_fmac_f32_e32 v92, v77, v91
	v_and_b32_e32 v26, 0x7f8, v26
	v_fma_f32 v70, v33, v71, -v1
	v_fmac_f32_e32 v54, v32, v71
	v_add_nc_u32_e32 v32, 0x4b, v53
	v_add_nc_u32_e32 v33, 50, v53
	s_wait_dscnt 0x1
	v_mul_f32_e32 v5, v42, v74
	v_mul_f32_e32 v47, v43, v74
	s_wait_loadcnt 0x15
	v_dual_mul_f32 v1, v19, v57 :: v_dual_mul_f32 v14, v94, v96
	v_mul_f32_e32 v96, v93, v96
	v_fma_f32 v55, v43, v73, -v5
	ds_load_2addr_b64 v[5:8], v27 offset0:32 offset1:192
	v_add_nc_u32_e32 v27, 0x64, v53
	s_wait_loadcnt 0x13
	v_dual_mul_f32 v53, v97, v100 :: v_dual_and_b32 v2, 0x7f8, v2
	v_fmac_f32_e32 v47, v42, v73
	v_fma_f32 v72, v20, v56, -v1
	v_mul_f32_e32 v42, v98, v100
	s_delay_alu instid0(VALU_DEP_4)
	v_fmac_f32_e32 v53, v98, v99
	global_load_b64 v[51:52], v2, s[18:19] offset:4096
	v_lshrrev_b32_e32 v2, 13, v78
	v_fma_f32 v93, v93, v95, -v14
	v_dual_mul_f32 v71, v20, v57 :: v_dual_fmac_f32 v96, v94, v95
	v_fma_f32 v94, v97, v99, -v42
	s_wait_loadcnt 0x10
	v_dual_mul_f32 v98, v105, v108 :: v_dual_and_b32 v1, 0x7f8, v2
	s_wait_loadcnt 0xe
	v_dual_mul_f32 v100, v109, v112 :: v_dual_and_b32 v13, 0x7f8, v13
	v_mul_lo_u32 v74, v21, v33
	global_load_b64 v[1:2], v1, s[18:19] offset:4096
	v_mul_f32_e32 v33, v102, v104
	v_fmac_f32_e32 v100, v110, v111
	global_load_b64 v[13:14], v13, s[18:19] offset:4096
	v_mul_lo_u32 v32, v21, v32
	v_fmac_f32_e32 v98, v106, v107
	v_mul_lo_u32 v73, v21, v27
	v_fmac_f32_e32 v71, v19, v56
	v_lshrrev_b32_e32 v19, 13, v133
	v_fma_f32 v97, v101, v103, -v33
	v_mul_f32_e32 v33, v110, v112
	v_mul_f32_e32 v95, v101, v104
	v_lshrrev_b32_e32 v86, 13, v32
	v_and_b32_e32 v19, 0x7f8, v19
	v_lshrrev_b32_e32 v68, 5, v73
	v_fma_f32 v101, v109, v111, -v33
	v_and_b32_e32 v33, 0xff, v32
	v_lshrrev_b32_e32 v32, 5, v32
	v_lshrrev_b32_e32 v20, 13, v134
	s_wait_loadcnt 0xb
	v_dual_mul_f32 v77, v18, v82 :: v_dual_and_b32 v68, 0x7f8, v68
	s_delay_alu instid0(VALU_DEP_3)
	v_dual_fmac_f32 v95, v102, v103 :: v_dual_and_b32 v90, 0x7f8, v32
	s_wait_dscnt 0x1
	v_mul_f32_e32 v32, v30, v80
	s_clause 0x1
	global_load_b64 v[42:43], v19, s[18:19] offset:4096
	global_load_b64 v[26:27], v26, s[18:19] offset:4096
	v_mul_f32_e32 v19, v106, v108
	v_dual_fmac_f32 v77, v17, v81 :: v_dual_and_b32 v20, 0x7f8, v20
	v_mul_f32_e32 v102, v113, v116
	v_mul_lo_u32 v85, v21, v39
	s_delay_alu instid0(VALU_DEP_4)
	v_fma_f32 v99, v105, v107, -v19
	v_dual_mul_f32 v19, v114, v116 :: v_dual_and_b32 v86, 0x7f8, v86
	global_load_b64 v[56:57], v20, s[18:19] offset:4096
	v_lshrrev_b32_e32 v20, 13, v135
	v_dual_fmac_f32 v102, v114, v115 :: v_dual_and_b32 v39, 0xff, v73
	v_fma_f32 v103, v113, v115, -v19
	v_and_b32_e32 v83, 0xff, v74
	v_lshrrev_b32_e32 v84, 5, v74
	v_dual_mul_f32 v19, v17, v82 :: v_dual_and_b32 v88, 0x7f8, v20
	v_mul_f32_e32 v82, v31, v80
	v_mul_f32_e32 v69, v118, v120
	v_lshlrev_b32_e32 v39, 3, v39
	v_and_b32_e32 v104, 0x7f8, v84
	v_fma_f32 v78, v18, v81, -v19
	v_dual_fmac_f32 v82, v30, v79 :: v_dual_lshlrev_b32 v89, 3, v33
	s_wait_loadcnt 0xd
	v_mul_f32_e32 v33, v40, v61
	v_fma_f32 v105, v117, v119, -v69
	v_and_b32_e32 v69, 0xff, v85
	global_load_b128 v[17:20], v[121:122], off offset:176
	v_lshlrev_b32_e32 v91, 3, v83
	v_fma_f32 v83, v31, v79, -v32
	v_mul_f32_e32 v79, v41, v61
	s_wait_dscnt 0x0
	v_mul_f32_e32 v61, v7, v59
	v_fma_f32 v80, v41, v60, -v33
	s_clause 0x1
	global_load_b64 v[30:31], v39, s[18:19]
	global_load_b64 v[32:33], v68, s[18:19] offset:2048
	v_mul_f32_e32 v81, v8, v59
	v_lshrrev_b32_e32 v87, 5, v85
	v_dual_fmac_f32 v79, v40, v60 :: v_dual_lshlrev_b32 v106, 3, v69
	s_wait_loadcnt 0xb
	v_mul_f32_e32 v108, v92, v130
	v_sub_f32_e32 v116, v49, v47
	s_wait_loadcnt 0x6
	v_dual_mul_f32 v110, v97, v14 :: v_dual_and_b32 v87, 0x7f8, v87
	v_fma_f32 v84, v8, v58, -v61
	v_fmac_f32_e32 v81, v7, v58
	s_clause 0x3
	global_load_b64 v[7:8], v89, s[18:19]
	global_load_b64 v[39:40], v90, s[18:19] offset:2048
	global_load_b64 v[58:59], v91, s[18:19]
	global_load_b64 v[60:61], v104, s[18:19] offset:2048
	v_mul_f32_e32 v41, v10, v28
	v_mul_f32_e32 v69, v10, v29
	v_lshrrev_b32_e32 v91, 13, v85
	v_lshrrev_b32_e32 v85, 13, v73
	v_mul_f32_e32 v104, v123, v126
	v_fma_f32 v68, v9, v29, -v41
	v_fmac_f32_e32 v69, v9, v28
	s_clause 0x1
	global_load_b64 v[9:10], v106, s[18:19]
	global_load_b64 v[28:29], v87, s[18:19] offset:2048
	v_lshrrev_b32_e32 v41, 13, v74
	global_load_b64 v[73:74], v88, s[18:19] offset:4096
	v_dual_mul_f32 v107, v117, v120 :: v_dual_fmac_f32 v104, v124, v125
	v_dual_mul_f32 v87, v124, v126 :: v_dual_and_b32 v88, 0x7f8, v85
	v_and_b32_e32 v41, 0x7f8, v41
	s_delay_alu instid0(VALU_DEP_3) | instskip(SKIP_1) | instid1(VALU_DEP_4)
	v_fmac_f32_e32 v107, v118, v119
	v_fmac_f32_e32 v110, v13, v95
	v_fma_f32 v106, v123, v125, -v87
	s_clause 0x2
	global_load_b64 v[85:86], v86, s[18:19] offset:4096
	global_load_b64 v[87:88], v88, s[18:19] offset:4096
	;; [unrolled: 1-line block ×3, first 2 shown]
	v_fma_f32 v41, v129, v76, -v108
	v_mul_f32_e32 v108, v96, v128
	v_dual_mul_f32 v109, v93, v128 :: v_dual_mul_f32 v76, v76, v130
	v_and_b32_e32 v91, 0x7f8, v91
	s_delay_alu instid0(VALU_DEP_3) | instskip(NEXT) | instid1(VALU_DEP_3)
	v_fma_f32 v93, v127, v93, -v108
	v_dual_mul_f32 v108, v53, v2 :: v_dual_fmac_f32 v109, v127, v96
	v_mul_f32_e32 v96, v94, v2
	v_mul_f32_e32 v2, v95, v14
	v_fmac_f32_e32 v76, v129, v92
	s_delay_alu instid0(VALU_DEP_4)
	v_fma_f32 v94, v1, v94, -v108
	v_add_f32_e32 v108, v71, v54
	v_fmac_f32_e32 v96, v1, v53
	v_fma_f32 v53, v13, v97, -v2
	s_wait_loadcnt 0xa
	v_mul_f32_e32 v14, v31, v33
	v_mul_f32_e32 v1, v30, v33
	s_delay_alu instid0(VALU_DEP_2) | instskip(NEXT) | instid1(VALU_DEP_2)
	v_fma_f32 v14, v30, v32, -v14
	v_fmac_f32_e32 v1, v31, v32
	s_wait_loadcnt 0x6
	v_mul_f32_e32 v2, v59, v61
	v_mul_f32_e32 v13, v58, v61
	s_delay_alu instid0(VALU_DEP_2)
	v_fma_f32 v2, v58, v60, -v2
	s_wait_loadcnt 0x4
	v_mul_f32_e32 v61, v10, v29
	s_wait_loadcnt 0x3
	v_dual_mul_f32 v29, v9, v29 :: v_dual_mul_f32 v30, v106, v74
	global_load_b64 v[91:92], v91, s[18:19] offset:4096
	v_fma_f32 v31, v9, v28, -v61
	v_fmac_f32_e32 v30, v73, v104
	s_wait_loadcnt 0x2
	v_mul_f32_e32 v32, v14, v88
	v_mul_f32_e32 v33, v8, v40
	;; [unrolled: 1-line block ×3, first 2 shown]
	v_fmac_f32_e32 v29, v10, v28
	s_wait_loadcnt 0x1
	v_mul_f32_e32 v58, v2, v90
	v_fmac_f32_e32 v32, v87, v1
	v_fma_f32 v7, v7, v39, -v33
	v_fmac_f32_e32 v40, v8, v39
	v_mul_f32_e32 v8, v104, v74
	s_delay_alu instid0(VALU_DEP_2) | instskip(NEXT) | instid1(VALU_DEP_2)
	v_mul_f32_e32 v9, v40, v86
	v_fma_f32 v28, v73, v106, -v8
	v_mul_f32_e32 v8, v1, v88
	v_dual_fmac_f32 v13, v59, v60 :: v_dual_sub_f32 v60, v148, v150
	v_sub_f32_e32 v61, v147, v153
	s_delay_alu instid0(VALU_DEP_3) | instskip(SKIP_4) | instid1(VALU_DEP_2)
	v_fma_f32 v8, v87, v14, -v8
	v_fma_f32 v14, v85, v7, -v9
	ds_load_b64 v[9:10], v37
	v_mul_f32_e32 v39, v13, v90
	v_fmac_f32_e32 v58, v89, v13
	v_fma_f32 v37, v89, v2, -v39
	v_mul_f32_e32 v2, v98, v27
	v_mul_f32_e32 v39, v99, v27
	s_delay_alu instid0(VALU_DEP_2) | instskip(SKIP_2) | instid1(VALU_DEP_4)
	v_fma_f32 v59, v26, v99, -v2
	v_dual_sub_f32 v2, v149, v147 :: v_dual_mul_f32 v33, v7, v86
	v_add_f32_e32 v7, v147, v153
	v_fmac_f32_e32 v39, v26, v98
	v_sub_f32_e32 v26, v148, v146
	v_sub_f32_e32 v129, v71, v54
	v_fmac_f32_e32 v33, v85, v40
	s_wait_loadcnt 0x0
	v_mul_f32_e32 v1, v29, v92
	v_mul_f32_e32 v13, v31, v92
	s_delay_alu instid0(VALU_DEP_2) | instskip(SKIP_2) | instid1(VALU_DEP_2)
	v_fma_f32 v31, v91, v31, -v1
	v_mul_f32_e32 v1, v144, v35
	v_mul_f32_e32 v35, v145, v35
	v_fma_f32 v40, v34, v145, -v1
	s_delay_alu instid0(VALU_DEP_2) | instskip(SKIP_3) | instid1(VALU_DEP_2)
	v_fmac_f32_e32 v35, v34, v144
	s_wait_dscnt 0x0
	v_fma_f32 v34, -0.5, v7, v10
	v_sub_f32_e32 v7, v152, v153
	v_fmamk_f32 v74, v60, 0xbf737871, v34
	s_delay_alu instid0(VALU_DEP_2) | instskip(SKIP_3) | instid1(VALU_DEP_3)
	v_add_f32_e32 v86, v2, v7
	v_dual_sub_f32 v85, v146, v151 :: v_dual_fmac_f32 v34, 0x3f737871, v60
	v_dual_add_f32 v2, v149, v152 :: v_dual_sub_f32 v89, v151, v150
	v_sub_f32_e32 v7, v147, v149
	v_fmac_f32_e32 v34, 0x3f167918, v85
	s_delay_alu instid0(VALU_DEP_3) | instskip(SKIP_2) | instid1(VALU_DEP_4)
	v_fma_f32 v88, -0.5, v2, v10
	v_sub_f32_e32 v2, v146, v148
	v_add_f32_e32 v10, v10, v149
	v_dual_fmac_f32 v34, 0x3e9e377a, v86 :: v_dual_add_f32 v1, v146, v151
	v_fmac_f32_e32 v74, 0xbf167918, v85
	s_delay_alu instid0(VALU_DEP_4) | instskip(NEXT) | instid1(VALU_DEP_4)
	v_add_f32_e32 v89, v2, v89
	v_add_f32_e32 v10, v10, v147
	s_delay_alu instid0(VALU_DEP_4) | instskip(NEXT) | instid1(VALU_DEP_4)
	v_fma_f32 v27, -0.5, v1, v9
	v_dual_sub_f32 v1, v150, v151 :: v_dual_fmac_f32 v74, 0x3e9e377a, v86
	v_sub_f32_e32 v86, v139, v143
	s_delay_alu instid0(VALU_DEP_2) | instskip(NEXT) | instid1(VALU_DEP_1)
	v_dual_add_f32 v26, v26, v1 :: v_dual_add_f32 v1, v148, v150
	v_fma_f32 v87, -0.5, v1, v9
	v_sub_f32_e32 v1, v153, v152
	s_delay_alu instid0(VALU_DEP_2) | instskip(SKIP_1) | instid1(VALU_DEP_3)
	v_fmamk_f32 v90, v61, 0xbf737871, v87
	v_fmac_f32_e32 v13, v91, v29
	v_dual_add_f32 v92, v7, v1 :: v_dual_sub_f32 v29, v149, v152
	v_fmamk_f32 v91, v85, 0x3f737871, v88
	v_fmac_f32_e32 v87, 0x3f737871, v61
	v_dual_mul_f32 v1, v74, v32 :: v_dual_fmac_f32 v88, 0xbf737871, v85
	s_delay_alu instid0(VALU_DEP_4) | instskip(SKIP_2) | instid1(VALU_DEP_4)
	v_fmamk_f32 v73, v29, 0x3f737871, v27
	v_fmac_f32_e32 v90, 0x3f167918, v29
	v_fmac_f32_e32 v91, 0xbf167918, v60
	v_dual_sub_f32 v85, v140, v141 :: v_dual_fmac_f32 v88, 0x3f167918, v60
	s_delay_alu instid0(VALU_DEP_4) | instskip(NEXT) | instid1(VALU_DEP_3)
	v_fmac_f32_e32 v73, 0x3f167918, v61
	v_dual_fmac_f32 v90, 0x3e9e377a, v89 :: v_dual_fmac_f32 v91, 0x3e9e377a, v92
	s_delay_alu instid0(VALU_DEP_2) | instskip(NEXT) | instid1(VALU_DEP_1)
	v_dual_fmac_f32 v88, 0x3e9e377a, v92 :: v_dual_fmac_f32 v73, 0x3e9e377a, v26
	v_dual_mul_f32 v7, v91, v33 :: v_dual_mul_f32 v2, v73, v32
	s_delay_alu instid0(VALU_DEP_3) | instskip(SKIP_4) | instid1(VALU_DEP_4)
	v_mul_f32_e32 v32, v90, v33
	v_fmac_f32_e32 v27, 0xbf737871, v29
	v_fmac_f32_e32 v87, 0xbf167918, v29
	v_add_f32_e32 v29, v9, v148
	v_fma_f32 v2, v74, v8, -v2
	v_fmac_f32_e32 v27, 0xbf167918, v61
	s_delay_alu instid0(VALU_DEP_4) | instskip(NEXT) | instid1(VALU_DEP_4)
	v_fmac_f32_e32 v87, 0x3e9e377a, v89
	v_add_f32_e32 v29, v29, v146
	v_sub_f32_e32 v89, v137, v141
	v_fmac_f32_e32 v1, v73, v8
	v_dual_fmac_f32 v27, 0x3e9e377a, v26 :: v_dual_add_f32 v26, v10, v153
	v_fma_f32 v8, v91, v14, -v32
	ds_load_b64 v[32:33], v24
	ds_load_b64 v[73:74], v25
	v_add_f32_e32 v24, v29, v151
	v_dual_add_f32 v26, v26, v152 :: v_dual_sub_f32 v61, v136, v137
	s_delay_alu instid0(VALU_DEP_2) | instskip(NEXT) | instid1(VALU_DEP_2)
	v_add_f32_e32 v29, v24, v150
	v_dual_mul_f32 v24, v26, v30 :: v_dual_add_f32 v61, v61, v85
	s_delay_alu instid0(VALU_DEP_1) | instskip(SKIP_1) | instid1(VALU_DEP_1)
	v_dual_fmac_f32 v24, v29, v28 :: v_dual_fmac_f32 v7, v90, v14
	v_mul_f32_e32 v14, v87, v58
	v_fma_f32 v10, v88, v37, -v14
	v_mul_f32_e32 v14, v27, v13
	v_mul_f32_e32 v13, v34, v13
	s_wait_dscnt 0x0
	v_fma_f32 v133, -0.5, v108, v73
	s_delay_alu instid0(VALU_DEP_3) | instskip(NEXT) | instid1(VALU_DEP_3)
	v_fma_f32 v14, v34, v31, -v14
	v_fmac_f32_e32 v13, v27, v31
	v_dual_mul_f32 v27, v29, v30 :: v_dual_add_f32 v30, v139, v143
	v_sub_f32_e32 v34, v138, v139
	s_delay_alu instid0(VALU_DEP_2) | instskip(SKIP_2) | instid1(VALU_DEP_2)
	v_fma_f32 v25, v26, v28, -v27
	v_dual_add_f32 v27, v138, v142 :: v_dual_add_f32 v26, v136, v140
	v_sub_f32_e32 v28, v137, v136
	v_fma_f32 v85, -0.5, v27, v33
	v_mul_f32_e32 v9, v88, v58
	v_fma_f32 v58, -0.5, v30, v33
	v_dual_sub_f32 v30, v138, v142 :: v_dual_add_f32 v31, v137, v141
	s_delay_alu instid0(VALU_DEP_4) | instskip(SKIP_1) | instid1(VALU_DEP_3)
	v_fmamk_f32 v92, v89, 0x3f737871, v85
	v_add_f32_e32 v33, v33, v138
	v_fma_f32 v60, -0.5, v31, v32
	v_sub_f32_e32 v31, v136, v140
	s_delay_alu instid0(VALU_DEP_3) | instskip(NEXT) | instid1(VALU_DEP_2)
	v_add_f32_e32 v33, v33, v139
	v_dual_sub_f32 v29, v143, v142 :: v_dual_fmac_f32 v92, 0xbf167918, v31
	v_fmac_f32_e32 v9, v87, v37
	v_sub_f32_e32 v37, v142, v143
	v_fmamk_f32 v87, v30, 0x3f737871, v60
	v_fmac_f32_e32 v60, 0xbf737871, v30
	s_delay_alu instid0(VALU_DEP_3) | instskip(SKIP_4) | instid1(VALU_DEP_4)
	v_add_f32_e32 v34, v34, v37
	v_fma_f32 v37, -0.5, v26, v32
	v_add_f32_e32 v32, v32, v136
	v_sub_f32_e32 v26, v139, v138
	v_dual_fmac_f32 v60, 0xbf167918, v86 :: v_dual_sub_f32 v27, v141, v140
	v_fmamk_f32 v90, v86, 0xbf737871, v37
	v_fmac_f32_e32 v37, 0x3f737871, v86
	s_delay_alu instid0(VALU_DEP_4)
	v_add_f32_e32 v95, v26, v29
	v_add_f32_e32 v32, v32, v137
	;; [unrolled: 1-line block ×3, first 2 shown]
	v_fmac_f32_e32 v90, 0x3f167918, v30
	v_fmac_f32_e32 v37, 0xbf167918, v30
	;; [unrolled: 1-line block ×3, first 2 shown]
	s_delay_alu instid0(VALU_DEP_3) | instskip(NEXT) | instid1(VALU_DEP_2)
	v_fmac_f32_e32 v90, 0x3e9e377a, v28
	v_dual_fmac_f32 v37, 0x3e9e377a, v28 :: v_dual_mul_f32 v28, v92, v109
	s_delay_alu instid0(VALU_DEP_1) | instskip(SKIP_2) | instid1(VALU_DEP_1)
	v_fmac_f32_e32 v28, v90, v93
	v_fmamk_f32 v88, v31, 0xbf737871, v58
	v_fmac_f32_e32 v58, 0x3f737871, v31
	v_dual_fmac_f32 v87, 0x3f167918, v86 :: v_dual_fmac_f32 v58, 0x3f167918, v89
	s_delay_alu instid0(VALU_DEP_1) | instskip(SKIP_2) | instid1(VALU_DEP_2)
	v_fmac_f32_e32 v58, 0x3e9e377a, v34
	v_fmac_f32_e32 v85, 0xbf737871, v89
	;; [unrolled: 1-line block ×4, first 2 shown]
	s_delay_alu instid0(VALU_DEP_2) | instskip(SKIP_1) | instid1(VALU_DEP_3)
	v_fmac_f32_e32 v88, 0x3e9e377a, v34
	v_add_nc_u32_e32 v34, 0x64, v38
	v_dual_fmac_f32 v60, 0x3e9e377a, v61 :: v_dual_fmac_f32 v85, 0x3e9e377a, v95
	s_delay_alu instid0(VALU_DEP_3) | instskip(NEXT) | instid1(VALU_DEP_2)
	v_mul_f32_e32 v26, v88, v76
	v_dual_mul_f32 v30, v85, v96 :: v_dual_fmac_f32 v87, 0x3e9e377a, v61
	s_delay_alu instid0(VALU_DEP_4) | instskip(SKIP_1) | instid1(VALU_DEP_3)
	v_mul_lo_u32 v61, v21, v34
	v_add_f32_e32 v34, v33, v143
	v_dual_fmac_f32 v30, v37, v94 :: v_dual_mul_f32 v91, v87, v76
	v_fmac_f32_e32 v26, v87, v41
	s_delay_alu instid0(VALU_DEP_4) | instskip(NEXT) | instid1(VALU_DEP_3)
	v_lshrrev_b32_e32 v76, 5, v61
	v_fma_f32 v27, v88, v41, -v91
	v_mul_f32_e32 v41, v37, v96
	v_dual_add_f32 v37, v32, v141 :: v_dual_mul_f32 v32, v58, v110
	v_mul_f32_e32 v29, v90, v109
	v_sub_f32_e32 v109, v72, v50
	s_delay_alu instid0(VALU_DEP_4) | instskip(SKIP_4) | instid1(VALU_DEP_4)
	v_fma_f32 v31, v85, v94, -v41
	v_mul_f32_e32 v41, v60, v110
	v_dual_add_f32 v37, v37, v140 :: v_dual_fmac_f32 v32, v60, v53
	v_and_b32_e32 v60, 0xff, v61
	v_add_nc_u32_e32 v85, 50, v38
	v_fma_f32 v33, v58, v53, -v41
	v_add_nc_u32_e32 v41, 0x4b, v38
	v_dual_add_f32 v53, v34, v142 :: v_dual_mul_f32 v58, v37, v35
	v_lshrrev_b32_e32 v61, 13, v61
	v_sub_f32_e32 v110, v70, v55
	s_delay_alu instid0(VALU_DEP_4) | instskip(NEXT) | instid1(VALU_DEP_4)
	v_mul_lo_u32 v41, v21, v41
	v_mul_f32_e32 v34, v53, v35
	v_fma_f32 v35, v53, v40, -v58
	v_and_b32_e32 v58, 0x7f8, v76
	v_lshlrev_b32_e32 v53, 3, v60
	v_fma_f32 v29, v92, v93, -v29
	v_fmac_f32_e32 v34, v37, v40
	v_mul_lo_u32 v60, v21, v85
	v_and_b32_e32 v76, 0xff, v41
	v_lshrrev_b32_e32 v89, 5, v41
	s_clause 0x1
	global_load_b64 v[85:86], v53, s[18:19]
	global_load_b64 v[87:88], v58, s[18:19] offset:2048
	v_mul_f32_e32 v53, v100, v43
	v_lshrrev_b32_e32 v41, 13, v41
	v_lshlrev_b32_e32 v37, 3, v76
	v_and_b32_e32 v40, 0x7f8, v89
	s_clause 0x1
	global_load_b64 v[89:90], v37, s[18:19]
	global_load_b64 v[91:92], v40, s[18:19] offset:2048
	v_mul_f32_e32 v40, v101, v43
	v_fma_f32 v43, v42, v101, -v53
	v_and_b32_e32 v58, 0xff, v60
	v_lshrrev_b32_e32 v76, 5, v60
	s_delay_alu instid0(VALU_DEP_4) | instskip(SKIP_1) | instid1(VALU_DEP_4)
	v_dual_fmac_f32 v40, v42, v100 :: v_dual_and_b32 v41, 0x7f8, v41
	v_add_nc_u32_e32 v42, 25, v38
	v_dual_mul_f32 v58, v102, v52 :: v_dual_lshlrev_b32 v37, 3, v58
	v_mul_f32_e32 v52, v103, v52
	v_and_b32_e32 v53, 0x7f8, v76
	s_delay_alu instid0(VALU_DEP_4)
	v_mul_lo_u32 v42, v21, v42
	s_clause 0x1
	global_load_b64 v[93:94], v37, s[18:19]
	global_load_b64 v[95:96], v53, s[18:19] offset:2048
	v_fma_f32 v58, v51, v103, -v58
	v_fmac_f32_e32 v52, v51, v102
	v_mul_f32_e32 v76, v107, v57
	v_and_b32_e32 v61, 0x7f8, v61
	v_and_b32_e32 v51, 0xff, v42
	v_lshrrev_b32_e32 v99, 5, v42
	global_load_b64 v[97:98], v41, s[18:19] offset:4096
	v_mul_f32_e32 v57, v105, v57
	v_dual_add_f32 v114, v109, v110 :: v_dual_lshlrev_b32 v41, 3, v51
	v_and_b32_e32 v51, 0x7f8, v99
	s_clause 0x2
	global_load_b64 v[99:100], v61, s[18:19] offset:4096
	global_load_b64 v[101:102], v41, s[18:19]
	global_load_b64 v[103:104], v51, s[18:19] offset:2048
	v_fma_f32 v51, v56, v105, -v76
	ds_load_b64 v[105:106], v36
	v_lshrrev_b32_e32 v36, 13, v60
	v_add_f32_e32 v60, v50, v55
	v_sub_f32_e32 v76, v47, v54
	v_lshrrev_b32_e32 v42, 13, v42
	v_sub_f32_e32 v61, v49, v71
	v_dual_sub_f32 v53, v55, v70 :: v_dual_and_b32 v36, 0x7f8, v36
	v_fma_f32 v60, -0.5, v60, v74
	s_delay_alu instid0(VALU_DEP_4) | instskip(NEXT) | instid1(VALU_DEP_4)
	v_dual_sub_f32 v115, v50, v55 :: v_dual_and_b32 v42, 0x7f8, v42
	v_add_f32_e32 v61, v61, v76
	s_delay_alu instid0(VALU_DEP_3)
	v_fmamk_f32 v113, v129, 0x3f737871, v60
	v_dual_fmac_f32 v60, 0xbf737871, v129 :: v_dual_fmac_f32 v57, v56, v107
	v_sub_f32_e32 v56, v72, v70
	s_clause 0x1
	global_load_b64 v[107:108], v36, s[18:19] offset:4096
	global_load_b64 v[109:110], v42, s[18:19] offset:4096
	v_fmac_f32_e32 v60, 0x3f167918, v116
	v_dual_fmac_f32 v113, 0xbf167918, v116 :: v_dual_sub_f32 v36, v54, v47
	v_add_nc_u32_e32 v42, 0x64, v75
	s_delay_alu instid0(VALU_DEP_3) | instskip(NEXT) | instid1(VALU_DEP_3)
	v_fmac_f32_e32 v60, 0x3e9e377a, v114
	v_fmac_f32_e32 v113, 0x3e9e377a, v114
	v_add_f32_e32 v41, v72, v70
	s_delay_alu instid0(VALU_DEP_4) | instskip(NEXT) | instid1(VALU_DEP_2)
	v_mul_lo_u32 v42, v21, v42
	v_fma_f32 v134, -0.5, v41, v74
	v_fmamk_f32 v41, v115, 0x3f737871, v133
	v_dual_fmac_f32 v133, 0xbf737871, v115 :: v_dual_add_f32 v74, v74, v50
	s_delay_alu instid0(VALU_DEP_3) | instskip(NEXT) | instid1(VALU_DEP_3)
	v_fmamk_f32 v76, v116, 0xbf737871, v134
	v_fmac_f32_e32 v41, 0x3f167918, v56
	v_fmac_f32_e32 v134, 0x3f737871, v116
	s_delay_alu instid0(VALU_DEP_3) | instskip(SKIP_1) | instid1(VALU_DEP_4)
	v_dual_fmac_f32 v133, 0xbf167918, v56 :: v_dual_fmac_f32 v76, 0xbf167918, v129
	v_sub_f32_e32 v37, v50, v72
	v_fmac_f32_e32 v41, 0x3e9e377a, v61
	s_delay_alu instid0(VALU_DEP_2) | instskip(NEXT) | instid1(VALU_DEP_1)
	v_add_f32_e32 v53, v37, v53
	v_dual_add_f32 v37, v49, v47 :: v_dual_fmac_f32 v76, 0x3e9e377a, v53
	s_delay_alu instid0(VALU_DEP_1) | instskip(SKIP_1) | instid1(VALU_DEP_1)
	v_fma_f32 v135, -0.5, v37, v73
	v_sub_f32_e32 v37, v71, v49
	v_dual_fmamk_f32 v111, v56, 0xbf737871, v135 :: v_dual_add_f32 v112, v37, v36
	s_delay_alu instid0(VALU_DEP_4) | instskip(SKIP_1) | instid1(VALU_DEP_2)
	v_mul_f32_e32 v36, v76, v39
	v_mul_f32_e32 v37, v41, v39
	v_fmac_f32_e32 v36, v41, v59
	s_delay_alu instid0(VALU_DEP_4) | instskip(NEXT) | instid1(VALU_DEP_3)
	v_dual_fmac_f32 v111, 0x3f167918, v115 :: v_dual_fmac_f32 v134, 0x3f167918, v129
	v_fma_f32 v37, v76, v59, -v37
	v_mul_lo_u32 v76, v21, v38
	v_mul_f32_e32 v38, v113, v40
	s_delay_alu instid0(VALU_DEP_4) | instskip(NEXT) | instid1(VALU_DEP_1)
	v_fmac_f32_e32 v111, 0x3e9e377a, v112
	v_mul_f32_e32 v39, v111, v40
	s_delay_alu instid0(VALU_DEP_4) | instskip(SKIP_2) | instid1(VALU_DEP_4)
	v_lshrrev_b32_e32 v40, 5, v76
	v_and_b32_e32 v41, 0xff, v76
	v_lshrrev_b32_e32 v59, 13, v76
	v_fma_f32 v39, v113, v43, -v39
	s_delay_alu instid0(VALU_DEP_4)
	v_and_b32_e32 v40, 0x7f8, v40
	v_fmac_f32_e32 v134, 0x3e9e377a, v53
	v_dual_fmac_f32 v38, v111, v43 :: v_dual_fmac_f32 v133, 0x3e9e377a, v61
	v_fmac_f32_e32 v135, 0x3f737871, v56
	v_lshlrev_b32_e32 v41, 3, v41
	v_mul_f32_e32 v56, v22, v45
	v_mul_f32_e32 v45, v48, v45
	s_delay_alu instid0(VALU_DEP_4)
	v_fmac_f32_e32 v135, 0xbf167918, v115
	global_load_b64 v[113:114], v41, s[18:19]
	v_fmac_f32_e32 v45, v44, v22
	v_fmac_f32_e32 v135, 0x3e9e377a, v112
	global_load_b64 v[111:112], v40, s[18:19] offset:2048
	v_mul_f32_e32 v40, v60, v52
	v_dual_mul_f32 v43, v135, v52 :: v_dual_and_b32 v52, 0x7f8, v59
	v_and_b32_e32 v59, 0xff, v42
	s_delay_alu instid0(VALU_DEP_2)
	v_fma_f32 v41, v60, v58, -v43
	v_add_nc_u32_e32 v43, 0x4b, v75
	global_load_b64 v[115:116], v52, s[18:19] offset:4096
	v_add_nc_u32_e32 v52, 50, v75
	v_lshrrev_b32_e32 v60, 5, v42
	v_lshlrev_b32_e32 v59, 3, v59
	v_mul_lo_u32 v43, v21, v43
	v_lshrrev_b32_e32 v42, 13, v42
	v_mul_lo_u32 v52, v21, v52
	v_and_b32_e32 v60, 0x7f8, v60
	s_clause 0x1
	global_load_b64 v[117:118], v59, s[18:19]
	global_load_b64 v[119:120], v60, s[18:19] offset:2048
	v_and_b32_e32 v76, 0xff, v43
	v_lshrrev_b32_e32 v121, 5, v43
	v_lshrrev_b32_e32 v43, 13, v43
	;; [unrolled: 1-line block ×3, first 2 shown]
	v_and_b32_e32 v42, 0x7f8, v42
	v_lshlrev_b32_e32 v59, 3, v76
	v_and_b32_e32 v76, 0xff, v52
	v_and_b32_e32 v60, 0x7f8, v121
	s_clause 0x1
	global_load_b64 v[121:122], v59, s[18:19]
	global_load_b64 v[123:124], v60, s[18:19] offset:2048
	v_and_b32_e32 v43, 0x7f8, v43
	v_and_b32_e32 v60, 0x7f8, v125
	v_lshlrev_b32_e32 v59, 3, v76
	s_clause 0x3
	global_load_b64 v[125:126], v43, s[18:19] offset:4096
	global_load_b64 v[127:128], v42, s[18:19] offset:4096
	;; [unrolled: 1-line block ×3, first 2 shown]
	global_load_b64 v[131:132], v59, s[18:19]
	v_add_nc_u32_e32 v42, 25, v75
	v_lshrrev_b32_e32 v52, 13, v52
	v_mul_f32_e32 v43, v133, v57
	v_fma_f32 v76, v44, v48, -v56
	s_delay_alu instid0(VALU_DEP_4) | instskip(SKIP_4) | instid1(VALU_DEP_4)
	v_mul_lo_u32 v53, v21, v42
	v_mul_f32_e32 v42, v134, v57
	v_and_b32_e32 v48, 0x7f8, v52
	v_mul_lo_u32 v21, v21, v75
	v_fma_f32 v43, v134, v51, -v43
	v_fmac_f32_e32 v42, v133, v51
	v_and_b32_e32 v56, 0xff, v53
	v_lshrrev_b32_e32 v57, 5, v53
	v_lshrrev_b32_e32 v22, 13, v53
	v_and_b32_e32 v44, 0xff, v21
	s_delay_alu instid0(VALU_DEP_4) | instskip(NEXT) | instid1(VALU_DEP_4)
	v_lshlrev_b32_e32 v52, 3, v56
	v_and_b32_e32 v60, 0x7f8, v57
	global_load_b64 v[56:57], v48, s[18:19] offset:4096
	v_add_f32_e32 v48, v73, v49
	v_fmac_f32_e32 v40, v135, v58
	s_clause 0x1
	global_load_b64 v[58:59], v52, s[18:19]
	global_load_b64 v[60:61], v60, s[18:19] offset:2048
	v_and_b32_e32 v22, 0x7f8, v22
	v_lshlrev_b32_e32 v44, 3, v44
	v_lshrrev_b32_e32 v49, 13, v21
	v_add_f32_e32 v71, v48, v71
	global_load_b64 v[52:53], v22, s[18:19] offset:4096
	v_lshrrev_b32_e32 v22, 5, v21
	v_dual_add_f32 v54, v71, v54 :: v_dual_mul_f32 v71, v12, v16
	s_delay_alu instid0(VALU_DEP_2)
	v_and_b32_e32 v22, 0x7f8, v22
	s_clause 0x1
	global_load_b64 v[21:22], v22, s[18:19] offset:2048
	global_load_b64 v[50:51], v44, s[18:19]
	v_dual_fmac_f32 v71, v11, v15 :: v_dual_and_b32 v44, 0x7f8, v49
	global_load_b64 v[48:49], v44, s[18:19] offset:4096
	v_add_f32_e32 v44, v74, v72
	v_mul_f32_e32 v72, v12, v15
	v_add_f32_e32 v74, v78, v84
	s_delay_alu instid0(VALU_DEP_3) | instskip(NEXT) | instid1(VALU_DEP_3)
	v_add_f32_e32 v44, v44, v70
	v_fma_f32 v70, v11, v16, -v72
	v_add_f32_e32 v16, v54, v47
	s_delay_alu instid0(VALU_DEP_3) | instskip(NEXT) | instid1(VALU_DEP_1)
	v_add_f32_e32 v44, v44, v55
	v_mul_f32_e32 v11, v44, v45
	s_delay_alu instid0(VALU_DEP_1) | instskip(SKIP_3) | instid1(VALU_DEP_2)
	v_fmac_f32_e32 v11, v16, v76
	s_wait_loadcnt 0x1c
	v_mul_f32_e32 v12, v86, v88
	v_mul_f32_e32 v15, v85, v88
	v_fma_f32 v47, v85, v87, -v12
	s_delay_alu instid0(VALU_DEP_2)
	v_dual_mul_f32 v12, v16, v45 :: v_dual_fmac_f32 v15, v86, v87
	s_wait_loadcnt 0x1a
	v_mul_f32_e32 v45, v90, v92
	v_mul_f32_e32 v72, v89, v92
	v_sub_f32_e32 v16, v83, v78
	v_fma_f32 v12, v44, v76, -v12
	s_delay_alu instid0(VALU_DEP_4) | instskip(NEXT) | instid1(VALU_DEP_4)
	v_fma_f32 v44, v89, v91, -v45
	v_dual_sub_f32 v45, v80, v84 :: v_dual_fmac_f32 v72, v90, v91
	v_sub_f32_e32 v91, v77, v81
	s_wait_dscnt 0x0
	v_fma_f32 v86, -0.5, v74, v106
	s_delay_alu instid0(VALU_DEP_3)
	v_add_f32_e32 v85, v16, v45
	s_wait_loadcnt 0x18
	v_mul_f32_e32 v73, v93, v96
	v_sub_f32_e32 v74, v83, v80
	v_add_f32_e32 v76, v77, v81
	v_mul_f32_e32 v54, v94, v96
	s_delay_alu instid0(VALU_DEP_2) | instskip(SKIP_1) | instid1(VALU_DEP_3)
	v_fma_f32 v87, -0.5, v76, v105
	v_sub_f32_e32 v76, v82, v79
	v_fma_f32 v45, v93, v95, -v54
	ds_load_b64 v[54:55], v46
	s_wait_loadcnt 0x16
	v_dual_fmac_f32 v73, v94, v95 :: v_dual_mul_f32 v92, v47, v100
	v_fmamk_f32 v90, v76, 0xbf737871, v86
	v_fmamk_f32 v89, v74, 0x3f737871, v87
	v_fmac_f32_e32 v87, 0xbf737871, v74
	v_fmac_f32_e32 v86, 0x3f737871, v76
	;; [unrolled: 1-line block ×4, first 2 shown]
	s_delay_alu instid0(VALU_DEP_3) | instskip(NEXT) | instid1(VALU_DEP_2)
	v_fmac_f32_e32 v86, 0x3f167918, v91
	v_fmac_f32_e32 v90, 0x3e9e377a, v85
	v_sub_f32_e32 v46, v79, v81
	v_sub_f32_e32 v88, v78, v84
	s_delay_alu instid0(VALU_DEP_1) | instskip(SKIP_1) | instid1(VALU_DEP_1)
	v_dual_sub_f32 v16, v82, v77 :: v_dual_fmac_f32 v89, 0x3f167918, v88
	s_wait_loadcnt 0x14
	v_dual_add_f32 v93, v16, v46 :: v_dual_mul_f32 v16, v102, v104
	v_fmac_f32_e32 v87, 0xbf167918, v88
	s_delay_alu instid0(VALU_DEP_2) | instskip(NEXT) | instid1(VALU_DEP_3)
	v_fmac_f32_e32 v89, 0x3e9e377a, v93
	v_fma_f32 v95, v101, v103, -v16
	s_delay_alu instid0(VALU_DEP_3) | instskip(NEXT) | instid1(VALU_DEP_3)
	v_dual_mul_f32 v94, v101, v104 :: v_dual_fmac_f32 v87, 0x3e9e377a, v93
	v_mul_f32_e32 v16, v89, v92
	s_delay_alu instid0(VALU_DEP_2) | instskip(SKIP_2) | instid1(VALU_DEP_2)
	v_fmac_f32_e32 v94, v102, v103
	v_mul_f32_e32 v46, v15, v100
	v_dual_mul_f32 v15, v90, v92 :: v_dual_mul_f32 v92, v44, v98
	v_fma_f32 v46, v99, v47, -v46
	s_delay_alu instid0(VALU_DEP_2) | instskip(NEXT) | instid1(VALU_DEP_2)
	v_dual_mul_f32 v47, v72, v98 :: v_dual_fmac_f32 v92, v97, v72
	v_dual_sub_f32 v72, v78, v83 :: v_dual_fmac_f32 v15, v89, v46
	s_delay_alu instid0(VALU_DEP_2)
	v_fma_f32 v47, v97, v44, -v47
	s_wait_loadcnt 0x13
	v_mul_f32_e32 v97, v73, v108
	v_fma_f32 v16, v90, v46, -v16
	v_add_f32_e32 v46, v83, v80
	v_sub_f32_e32 v89, v84, v80
	s_delay_alu instid0(VALU_DEP_2) | instskip(NEXT) | instid1(VALU_DEP_2)
	v_fma_f32 v96, -0.5, v46, v106
	v_add_f32_e32 v72, v72, v89
	s_delay_alu instid0(VALU_DEP_2) | instskip(SKIP_1) | instid1(VALU_DEP_2)
	v_dual_sub_f32 v46, v81, v79 :: v_dual_fmamk_f32 v89, v91, 0x3f737871, v96
	v_fmac_f32_e32 v96, 0xbf737871, v91
	v_dual_fmac_f32 v89, 0xbf167918, v76 :: v_dual_add_f32 v44, v82, v79
	s_delay_alu instid0(VALU_DEP_2) | instskip(NEXT) | instid1(VALU_DEP_2)
	v_fmac_f32_e32 v96, 0x3f167918, v76
	v_dual_mul_f32 v76, v18, v6 :: v_dual_fmac_f32 v89, 0x3e9e377a, v72
	s_delay_alu instid0(VALU_DEP_3) | instskip(SKIP_1) | instid1(VALU_DEP_3)
	v_fma_f32 v90, -0.5, v44, v105
	v_sub_f32_e32 v44, v77, v82
	v_fmac_f32_e32 v76, v17, v5
	v_fmac_f32_e32 v86, 0x3e9e377a, v85
	;; [unrolled: 1-line block ×3, first 2 shown]
	v_fmamk_f32 v98, v88, 0xbf737871, v90
	v_add_f32_e32 v44, v44, v46
	v_fmac_f32_e32 v90, 0x3f737871, v88
	v_mul_f32_e32 v46, v45, v108
	v_fma_f32 v72, v107, v45, -v97
	v_fmac_f32_e32 v98, 0x3f167918, v74
	s_delay_alu instid0(VALU_DEP_4) | instskip(NEXT) | instid1(VALU_DEP_4)
	v_fmac_f32_e32 v90, 0xbf167918, v74
	v_fmac_f32_e32 v46, v107, v73
	s_delay_alu instid0(VALU_DEP_3) | instskip(NEXT) | instid1(VALU_DEP_3)
	v_fmac_f32_e32 v98, 0x3e9e377a, v44
	v_fmac_f32_e32 v90, 0x3e9e377a, v44
	v_mul_f32_e32 v44, v89, v92
	s_delay_alu instid0(VALU_DEP_3) | instskip(NEXT) | instid1(VALU_DEP_3)
	v_mul_f32_e32 v73, v98, v92
	v_mul_f32_e32 v92, v90, v46
	v_mul_f32_e32 v46, v96, v46
	s_delay_alu instid0(VALU_DEP_4) | instskip(NEXT) | instid1(VALU_DEP_4)
	v_fmac_f32_e32 v44, v98, v47
	v_fma_f32 v45, v89, v47, -v73
	s_wait_loadcnt 0x12
	v_mul_f32_e32 v73, v94, v110
	v_dual_mul_f32 v89, v95, v110 :: v_dual_fmac_f32 v46, v90, v72
	v_fma_f32 v47, v96, v72, -v92
	s_delay_alu instid0(VALU_DEP_3) | instskip(SKIP_1) | instid1(VALU_DEP_4)
	v_fma_f32 v90, v109, v95, -v73
	v_mul_f32_e32 v73, v3, v20
	v_fmac_f32_e32 v89, v109, v94
	s_delay_alu instid0(VALU_DEP_2)
	v_fma_f32 v73, v4, v19, -v73
	v_mul_f32_e32 v72, v4, v20
	s_wait_loadcnt 0x10
	v_dual_mul_f32 v20, v18, v5 :: v_dual_mul_f32 v5, v113, v112
	v_add_f32_e32 v4, v106, v83
	v_sub_f32_e32 v88, v68, v73
	v_dual_fmac_f32 v72, v3, v19 :: v_dual_mul_f32 v3, v114, v112
	s_delay_alu instid0(VALU_DEP_4)
	v_fma_f32 v74, v17, v6, -v20
	v_mul_f32_e32 v17, v87, v89
	v_fmac_f32_e32 v5, v114, v111
	v_add_f32_e32 v19, v4, v78
	v_fma_f32 v6, v113, v111, -v3
	v_add_f32_e32 v3, v105, v82
	v_fma_f32 v4, v86, v90, -v17
	s_wait_loadcnt 0xf
	v_mul_f32_e32 v17, v5, v116
	v_dual_add_f32 v83, v68, v73 :: v_dual_mul_f32 v20, v6, v116
	v_add_f32_e32 v18, v3, v77
	v_mul_f32_e32 v3, v86, v89
	s_delay_alu instid0(VALU_DEP_4)
	v_fma_f32 v89, v115, v6, -v17
	v_add_f32_e32 v17, v70, v74
	v_sub_f32_e32 v86, v70, v74
	s_wait_loadcnt 0xd
	v_mul_f32_e32 v6, v117, v120
	v_fmac_f32_e32 v20, v115, v5
	v_add_f32_e32 v18, v18, v81
	s_wait_dscnt 0x0
	v_fma_f32 v77, -0.5, v17, v55
	v_mul_f32_e32 v5, v118, v120
	v_dual_fmac_f32 v6, v118, v119 :: v_dual_fmac_f32 v3, v87, v90
	v_dual_add_f32 v19, v19, v84 :: v_dual_sub_f32 v82, v68, v70
	s_wait_loadcnt 0xb
	v_mul_f32_e32 v17, v122, v124
	v_fma_f32 v5, v117, v119, -v5
	v_fma_f32 v83, -0.5, v83, v55
	v_add_f32_e32 v55, v55, v68
	s_delay_alu instid0(VALU_DEP_4)
	v_fma_f32 v91, v121, v123, -v17
	s_wait_loadcnt 0x7
	v_dual_add_f32 v18, v18, v79 :: v_dual_mul_f32 v17, v132, v130
	v_add_f32_e32 v79, v71, v76
	v_mul_f32_e32 v93, v5, v128
	v_dual_mul_f32 v99, v91, v126 :: v_dual_mul_f32 v78, v6, v128
	s_delay_alu instid0(VALU_DEP_4) | instskip(SKIP_1) | instid1(VALU_DEP_4)
	v_fma_f32 v87, v131, v129, -v17
	v_sub_f32_e32 v17, v72, v76
	v_fmac_f32_e32 v93, v127, v6
	s_delay_alu instid0(VALU_DEP_4) | instskip(SKIP_3) | instid1(VALU_DEP_3)
	v_fma_f32 v92, v127, v5, -v78
	v_sub_f32_e32 v5, v69, v71
	v_fma_f32 v78, -0.5, v79, v54
	v_sub_f32_e32 v6, v73, v74
	v_add_f32_e32 v79, v5, v17
	v_add_f32_e32 v5, v19, v80
	v_mul_f32_e32 v17, v18, v20
	s_delay_alu instid0(VALU_DEP_4) | instskip(SKIP_1) | instid1(VALU_DEP_3)
	v_dual_sub_f32 v85, v69, v72 :: v_dual_add_f32 v80, v82, v6
	v_add_f32_e32 v19, v69, v72
	v_fma_f32 v6, v5, v89, -v17
	s_delay_alu instid0(VALU_DEP_3)
	v_fmamk_f32 v95, v85, 0xbf737871, v77
	v_sub_f32_e32 v17, v70, v68
	v_sub_f32_e32 v81, v71, v76
	v_fma_f32 v82, -0.5, v19, v54
	v_dual_sub_f32 v19, v74, v73 :: v_dual_sub_f32 v96, v76, v72
	v_fmac_f32_e32 v77, 0x3f737871, v85
	s_delay_alu instid0(VALU_DEP_4) | instskip(SKIP_1) | instid1(VALU_DEP_4)
	v_fmac_f32_e32 v95, 0xbf167918, v81
	v_fmamk_f32 v98, v81, 0x3f737871, v83
	v_dual_add_f32 v100, v17, v19 :: v_dual_fmac_f32 v83, 0xbf737871, v81
	s_delay_alu instid0(VALU_DEP_4) | instskip(NEXT) | instid1(VALU_DEP_4)
	v_fmac_f32_e32 v77, 0x3f167918, v81
	v_fmac_f32_e32 v95, 0x3e9e377a, v80
	v_mul_f32_e32 v90, v121, v124
	v_fmac_f32_e32 v98, 0xbf167918, v85
	v_fmac_f32_e32 v83, 0x3f167918, v85
	v_fmamk_f32 v97, v86, 0xbf737871, v82
	s_delay_alu instid0(VALU_DEP_4) | instskip(NEXT) | instid1(VALU_DEP_4)
	v_dual_mul_f32 v17, v95, v93 :: v_dual_fmac_f32 v90, v122, v123
	v_fmac_f32_e32 v98, 0x3e9e377a, v100
	v_add_f32_e32 v54, v54, v69
	s_delay_alu instid0(VALU_DEP_3) | instskip(SKIP_3) | instid1(VALU_DEP_4)
	v_mul_f32_e32 v19, v90, v126
	v_fmac_f32_e32 v97, 0x3f167918, v88
	v_dual_mul_f32 v5, v5, v20 :: v_dual_sub_f32 v20, v71, v69
	v_dual_fmamk_f32 v94, v88, 0x3f737871, v78 :: v_dual_fmac_f32 v99, v125, v90
	v_fma_f32 v90, v125, v91, -v19
	s_delay_alu instid0(VALU_DEP_3) | instskip(SKIP_3) | instid1(VALU_DEP_3)
	v_dual_fmac_f32 v5, v18, v89 :: v_dual_add_f32 v96, v20, v96
	s_wait_alu 0xfffd
	v_cndmask_b32_e64 v89, 0, 0x7d, vcc_lo
	v_dual_fmac_f32 v94, 0x3f167918, v86 :: v_dual_mul_f32 v19, v98, v99
	v_dual_add_f32 v54, v54, v71 :: v_dual_fmac_f32 v97, 0x3e9e377a, v96
	v_mul_f32_e32 v84, v131, v130
	s_delay_alu instid0(VALU_DEP_3) | instskip(NEXT) | instid1(VALU_DEP_3)
	v_dual_fmac_f32 v94, 0x3e9e377a, v79 :: v_dual_add_nc_u32 v75, v75, v89
	v_dual_fmac_f32 v78, 0xbf737871, v88 :: v_dual_mul_f32 v91, v97, v99
	s_delay_alu instid0(VALU_DEP_3) | instskip(NEXT) | instid1(VALU_DEP_3)
	v_dual_fmac_f32 v84, v132, v129 :: v_dual_fmac_f32 v19, v97, v90
	v_add_nc_u32_e32 v68, 0x4b, v75
	s_delay_alu instid0(VALU_DEP_3) | instskip(SKIP_1) | instid1(VALU_DEP_3)
	v_dual_fmac_f32 v78, 0xbf167918, v86 :: v_dual_fmac_f32 v17, v94, v92
	s_wait_loadcnt 0x6
	v_mul_f32_e32 v89, v84, v57
	v_mul_f32_e32 v57, v87, v57
	v_dual_fmac_f32 v83, 0x3e9e377a, v100 :: v_dual_mul_f32 v20, v94, v93
	v_dual_fmac_f32 v77, 0x3e9e377a, v80 :: v_dual_fmac_f32 v78, 0x3e9e377a, v79
	s_delay_alu instid0(VALU_DEP_3) | instskip(NEXT) | instid1(VALU_DEP_3)
	v_fmac_f32_e32 v57, v56, v84
	v_fma_f32 v18, v95, v92, -v20
	v_fma_f32 v20, v98, v90, -v91
	s_wait_loadcnt 0x4
	v_mul_f32_e32 v90, v59, v61
	v_mul_f32_e32 v61, v58, v61
	s_delay_alu instid0(VALU_DEP_2) | instskip(NEXT) | instid1(VALU_DEP_2)
	v_fma_f32 v58, v58, v60, -v90
	v_dual_fmac_f32 v61, v59, v60 :: v_dual_fmac_f32 v82, 0x3f737871, v86
	s_wait_loadcnt 0x3
	s_delay_alu instid0(VALU_DEP_2) | instskip(NEXT) | instid1(VALU_DEP_2)
	v_mul_f32_e32 v59, v58, v53
	v_dual_mul_f32 v53, v61, v53 :: v_dual_fmac_f32 v82, 0xbf167918, v88
	v_fma_f32 v88, v56, v87, -v89
	v_mul_f32_e32 v56, v83, v57
	s_delay_alu instid0(VALU_DEP_4) | instskip(NEXT) | instid1(VALU_DEP_4)
	v_fmac_f32_e32 v59, v52, v61
	v_fma_f32 v58, v52, v58, -v53
	s_delay_alu instid0(VALU_DEP_2) | instskip(SKIP_1) | instid1(VALU_DEP_2)
	v_dual_fmac_f32 v82, 0x3e9e377a, v96 :: v_dual_mul_f32 v53, v78, v59
	v_mul_f32_e32 v52, v77, v59
	v_mul_f32_e32 v60, v82, v57
	v_mul_lo_u32 v59, s4, v75
	s_delay_alu instid0(VALU_DEP_4) | instskip(NEXT) | instid1(VALU_DEP_4)
	v_fma_f32 v53, v77, v58, -v53
	v_fmac_f32_e32 v52, v78, v58
	s_wait_loadcnt 0x1
	v_mul_f32_e32 v58, v51, v22
	v_fma_f32 v57, v83, v88, -v60
	v_mul_f32_e32 v60, v50, v22
	v_add3_u32 v22, v64, v59, s2
	s_delay_alu instid0(VALU_DEP_4) | instskip(SKIP_1) | instid1(VALU_DEP_4)
	v_fma_f32 v58, v50, v21, -v58
	v_add_f32_e32 v50, v55, v70
	v_dual_fmac_f32 v60, v21, v51 :: v_dual_add_f32 v21, v54, v76
	s_wait_loadcnt 0x0
	s_delay_alu instid0(VALU_DEP_3) | instskip(NEXT) | instid1(VALU_DEP_2)
	v_dual_mul_f32 v54, v49, v58 :: v_dual_add_nc_u32 v51, 25, v75
	v_dual_add_f32 v50, v50, v74 :: v_dual_mul_f32 v55, v49, v60
	s_delay_alu instid0(VALU_DEP_3) | instskip(NEXT) | instid1(VALU_DEP_3)
	v_add_f32_e32 v21, v21, v72
	v_mul_lo_u32 v51, s4, v51
	s_delay_alu instid0(VALU_DEP_3) | instskip(SKIP_3) | instid1(VALU_DEP_4)
	v_dual_fmac_f32 v54, v48, v60 :: v_dual_add_f32 v59, v50, v73
	v_lshlrev_b64_e32 v[49:50], 3, v[22:23]
	v_add_nc_u32_e32 v60, 50, v75
	v_fma_f32 v58, v48, v58, -v55
	v_mul_f32_e32 v61, v21, v54
	v_mul_f32_e32 v48, v59, v54
	v_add3_u32 v22, v64, v51, s2
	v_mul_lo_u32 v60, s4, v60
	v_add_co_u32 v54, vcc_lo, s0, v49
	s_wait_alu 0xfffd
	v_add_co_ci_u32_e32 v55, vcc_lo, s1, v50, vcc_lo
	v_cmp_lt_u32_e32 vcc_lo, 0x27f, v0
	v_fmac_f32_e32 v48, v21, v58
	v_mul_lo_u32 v21, s4, v68
	v_fma_f32 v49, v59, v58, -v61
	v_lshlrev_b64_e32 v[50:51], 3, v[22:23]
	v_add3_u32 v22, v64, v60, s2
	v_add_nc_u32_e32 v58, 0x64, v75
	s_wait_alu 0xfffd
	v_cndmask_b32_e64 v59, 0, 0x64, vcc_lo
	global_store_b64 v[54:55], v[48:49], off
	v_fmac_f32_e32 v56, v82, v88
	v_lshlrev_b64_e32 v[48:49], 3, v[22:23]
	v_mul_lo_u32 v58, s4, v58
	v_add3_u32 v22, v64, v21, s2
	v_add_nc_u32_e32 v21, v59, v62
	v_add_co_u32 v50, vcc_lo, s0, v50
	s_wait_alu 0xfffd
	v_add_co_ci_u32_e32 v51, vcc_lo, s1, v51, vcc_lo
	s_delay_alu instid0(VALU_DEP_3)
	v_mul_lo_u32 v60, s4, v21
	v_lshlrev_b64_e32 v[54:55], 3, v[22:23]
	v_add3_u32 v22, v64, v58, s2
	v_add_nc_u32_e32 v61, 25, v21
	v_add_co_u32 v48, vcc_lo, s0, v48
	s_wait_alu 0xfffd
	v_add_co_ci_u32_e32 v49, vcc_lo, s1, v49, vcc_lo
	v_lshlrev_b64_e32 v[58:59], 3, v[22:23]
	v_add3_u32 v22, v64, v60, s2
	v_add_nc_u32_e32 v60, 50, v21
	v_mul_lo_u32 v62, s4, v61
	v_add_co_u32 v54, vcc_lo, s0, v54
	s_wait_alu 0xfffd
	v_add_co_ci_u32_e32 v55, vcc_lo, s1, v55, vcc_lo
	v_mul_lo_u32 v68, s4, v60
	v_lshlrev_b64_e32 v[60:61], 3, v[22:23]
	v_add_co_u32 v58, vcc_lo, s0, v58
	s_wait_alu 0xfffd
	v_add_co_ci_u32_e32 v59, vcc_lo, s1, v59, vcc_lo
	v_add3_u32 v22, v64, v62, s2
	s_clause 0x3
	global_store_b64 v[50:51], v[52:53], off
	global_store_b64 v[48:49], v[56:57], off
	global_store_b64 v[54:55], v[19:20], off
	global_store_b64 v[58:59], v[17:18], off
	v_add_co_u32 v19, vcc_lo, s0, v60
	s_wait_alu 0xfffd
	v_add_co_ci_u32_e32 v20, vcc_lo, s1, v61, vcc_lo
	v_lshlrev_b64_e32 v[17:18], 3, v[22:23]
	v_add3_u32 v22, v64, v68, s2
	v_add_nc_u32_e32 v50, 0x4b, v21
	v_cmp_lt_u32_e32 vcc_lo, 0x1df, v0
	v_add_nc_u32_e32 v21, 0x64, v21
	global_store_b64 v[19:20], v[5:6], off
	v_lshlrev_b64_e32 v[48:49], 3, v[22:23]
	v_mul_lo_u32 v22, s4, v50
	s_wait_alu 0xfffd
	v_cndmask_b32_e64 v50, 0, 0x64, vcc_lo
	v_mul_lo_u32 v21, s4, v21
	v_add_co_u32 v17, vcc_lo, s0, v17
	s_wait_alu 0xfffd
	v_add_co_ci_u32_e32 v18, vcc_lo, s1, v18, vcc_lo
	v_add_nc_u32_e32 v52, v50, v63
	v_add3_u32 v22, v64, v22, s2
	v_add_co_u32 v48, vcc_lo, s0, v48
	s_wait_alu 0xfffd
	v_add_co_ci_u32_e32 v49, vcc_lo, s1, v49, vcc_lo
	v_mul_lo_u32 v53, s4, v52
	v_lshlrev_b64_e32 v[50:51], 3, v[22:23]
	v_add3_u32 v22, v64, v21, s2
	v_add_nc_u32_e32 v5, 25, v52
	s_clause 0x1
	global_store_b64 v[17:18], v[3:4], off
	global_store_b64 v[48:49], v[46:47], off
	v_add_nc_u32_e32 v20, 50, v52
	v_lshlrev_b64_e32 v[3:4], 3, v[22:23]
	v_add3_u32 v22, v64, v53, s2
	v_mul_lo_u32 v19, s4, v5
	v_add_co_u32 v5, vcc_lo, s0, v50
	s_wait_alu 0xfffd
	v_add_co_ci_u32_e32 v6, vcc_lo, s1, v51, vcc_lo
	v_lshlrev_b64_e32 v[17:18], 3, v[22:23]
	v_add_co_u32 v3, vcc_lo, s0, v3
	s_wait_alu 0xfffd
	v_add_co_ci_u32_e32 v4, vcc_lo, s1, v4, vcc_lo
	v_add3_u32 v22, v64, v19, s2
	v_mul_lo_u32 v21, s4, v20
	v_add_nc_u32_e32 v19, 0x4b, v52
	v_add_co_u32 v17, vcc_lo, s0, v17
	s_wait_alu 0xfffd
	v_add_co_ci_u32_e32 v18, vcc_lo, s1, v18, vcc_lo
	v_cmp_lt_u32_e32 vcc_lo, 0x13f, v0
	v_mul_lo_u32 v46, s4, v19
	global_store_b64 v[5:6], v[44:45], off
	v_add_nc_u32_e32 v5, 0x64, v52
	v_lshlrev_b64_e32 v[19:20], 3, v[22:23]
	v_add3_u32 v22, v64, v21, s2
	s_wait_alu 0xfffd
	v_cndmask_b32_e64 v0, 0, 0x64, vcc_lo
	s_clause 0x1
	global_store_b64 v[3:4], v[15:16], off
	global_store_b64 v[17:18], v[11:12], off
	v_mul_lo_u32 v15, s4, v5
	v_lshlrev_b64_e32 v[3:4], 3, v[22:23]
	v_add3_u32 v22, v64, v46, s2
	v_add_nc_u32_e32 v0, v0, v65
	v_add_co_u32 v5, vcc_lo, s0, v19
	s_wait_alu 0xfffd
	v_add_co_ci_u32_e32 v6, vcc_lo, s1, v20, vcc_lo
	v_lshlrev_b64_e32 v[11:12], 3, v[22:23]
	v_add3_u32 v22, v64, v15, s2
	v_mul_lo_u32 v17, s4, v0
	v_add_nc_u32_e32 v15, 25, v0
	v_add_co_u32 v3, vcc_lo, s0, v3
	global_store_b64 v[5:6], v[42:43], off
	v_add_nc_u32_e32 v5, 50, v0
	v_mul_lo_u32 v18, s4, v15
	s_wait_alu 0xfffd
	v_add_co_ci_u32_e32 v4, vcc_lo, s1, v4, vcc_lo
	v_add_co_u32 v11, vcc_lo, s0, v11
	v_lshlrev_b64_e32 v[15:16], 3, v[22:23]
	v_add3_u32 v22, v64, v17, s2
	s_wait_alu 0xfffd
	v_add_co_ci_u32_e32 v12, vcc_lo, s1, v12, vcc_lo
	v_mul_lo_u32 v17, s4, v5
	s_clause 0x1
	global_store_b64 v[3:4], v[40:41], off
	global_store_b64 v[11:12], v[38:39], off
	v_lshlrev_b64_e32 v[3:4], 3, v[22:23]
	v_add3_u32 v22, v64, v18, s2
	v_add_co_u32 v5, vcc_lo, s0, v15
	v_add_nc_u32_e32 v15, 0x4b, v0
	v_add_nc_u32_e32 v0, 0x64, v0
	s_delay_alu instid0(VALU_DEP_4)
	v_lshlrev_b64_e32 v[11:12], 3, v[22:23]
	v_add3_u32 v22, v64, v17, s2
	s_wait_alu 0xfffd
	v_add_co_ci_u32_e32 v6, vcc_lo, s1, v16, vcc_lo
	v_mul_lo_u32 v17, s4, v15
	v_and_b32_e32 v18, 0xffff, v67
	v_add_co_u32 v3, vcc_lo, s0, v3
	v_mul_lo_u32 v0, s4, v0
	s_wait_alu 0xfffd
	v_add_co_ci_u32_e32 v4, vcc_lo, s1, v4, vcc_lo
	v_add_co_u32 v11, vcc_lo, s0, v11
	v_lshlrev_b64_e32 v[15:16], 3, v[22:23]
	v_add3_u32 v22, v64, v17, s2
	v_mad_u32_u24 v17, 0x64, v18, v66
	s_wait_alu 0xfffd
	v_add_co_ci_u32_e32 v12, vcc_lo, s1, v12, vcc_lo
	s_clause 0x2
	global_store_b64 v[5:6], v[36:37], off
	global_store_b64 v[3:4], v[34:35], off
	;; [unrolled: 1-line block ×3, first 2 shown]
	v_lshlrev_b64_e32 v[3:4], 3, v[22:23]
	v_add3_u32 v22, v64, v0, s2
	v_mul_lo_u32 v0, s4, v17
	v_add_co_u32 v5, vcc_lo, s0, v15
	v_add_nc_u32_e32 v15, 25, v17
	s_delay_alu instid0(VALU_DEP_4)
	v_lshlrev_b64_e32 v[11:12], 3, v[22:23]
	s_wait_alu 0xfffd
	v_add_co_ci_u32_e32 v6, vcc_lo, s1, v16, vcc_lo
	v_add_co_u32 v3, vcc_lo, s0, v3
	v_add3_u32 v22, v64, v0, s2
	v_mul_lo_u32 v0, s4, v15
	v_add_nc_u32_e32 v15, 50, v17
	s_wait_alu 0xfffd
	v_add_co_ci_u32_e32 v4, vcc_lo, s1, v4, vcc_lo
	v_add_co_u32 v11, vcc_lo, s0, v11
	s_delay_alu instid0(VALU_DEP_3)
	v_mul_lo_u32 v18, s4, v15
	v_lshlrev_b64_e32 v[15:16], 3, v[22:23]
	v_add3_u32 v22, v64, v0, s2
	v_add_nc_u32_e32 v0, 0x4b, v17
	s_wait_alu 0xfffd
	v_add_co_ci_u32_e32 v12, vcc_lo, s1, v12, vcc_lo
	s_clause 0x2
	global_store_b64 v[5:6], v[30:31], off
	global_store_b64 v[3:4], v[28:29], off
	;; [unrolled: 1-line block ×3, first 2 shown]
	v_add_nc_u32_e32 v11, 0x64, v17
	v_mul_lo_u32 v0, s4, v0
	v_lshlrev_b64_e32 v[3:4], 3, v[22:23]
	v_add3_u32 v22, v64, v18, s2
	v_add_co_u32 v5, vcc_lo, s0, v15
	v_mul_lo_u32 v17, s4, v11
	s_wait_alu 0xfffd
	v_add_co_ci_u32_e32 v6, vcc_lo, s1, v16, vcc_lo
	v_lshlrev_b64_e32 v[11:12], 3, v[22:23]
	v_add3_u32 v22, v64, v0, s2
	v_add_co_u32 v3, vcc_lo, s0, v3
	s_wait_alu 0xfffd
	v_add_co_ci_u32_e32 v4, vcc_lo, s1, v4, vcc_lo
	s_delay_alu instid0(VALU_DEP_3) | instskip(SKIP_4) | instid1(VALU_DEP_3)
	v_lshlrev_b64_e32 v[15:16], 3, v[22:23]
	v_add3_u32 v22, v64, v17, s2
	v_add_co_u32 v11, vcc_lo, s0, v11
	s_wait_alu 0xfffd
	v_add_co_ci_u32_e32 v12, vcc_lo, s1, v12, vcc_lo
	v_lshlrev_b64_e32 v[17:18], 3, v[22:23]
	v_add_co_u32 v15, vcc_lo, s0, v15
	s_wait_alu 0xfffd
	v_add_co_ci_u32_e32 v16, vcc_lo, s1, v16, vcc_lo
	s_delay_alu instid0(VALU_DEP_3)
	v_add_co_u32 v17, vcc_lo, s0, v17
	s_wait_alu 0xfffd
	v_add_co_ci_u32_e32 v18, vcc_lo, s1, v18, vcc_lo
	s_clause 0x4
	global_store_b64 v[5:6], v[24:25], off
	global_store_b64 v[3:4], v[13:14], off
	;; [unrolled: 1-line block ×5, first 2 shown]
.LBB0_58:
	s_nop 0
	s_sendmsg sendmsg(MSG_DEALLOC_VGPRS)
	s_endpgm
	.section	.rodata,"a",@progbits
	.p2align	6, 0x0
	.amdhsa_kernel fft_rtc_back_len125_factors_5_5_5_wgs_160_tpt_5_dim3_sp_op_CI_CI_sbcc_twdbase8_3step_dirReg_intrinsicReadWrite
		.amdhsa_group_segment_fixed_size 0
		.amdhsa_private_segment_fixed_size 0
		.amdhsa_kernarg_size 104
		.amdhsa_user_sgpr_count 2
		.amdhsa_user_sgpr_dispatch_ptr 0
		.amdhsa_user_sgpr_queue_ptr 0
		.amdhsa_user_sgpr_kernarg_segment_ptr 1
		.amdhsa_user_sgpr_dispatch_id 0
		.amdhsa_user_sgpr_private_segment_size 0
		.amdhsa_wavefront_size32 1
		.amdhsa_uses_dynamic_stack 0
		.amdhsa_enable_private_segment 0
		.amdhsa_system_sgpr_workgroup_id_x 1
		.amdhsa_system_sgpr_workgroup_id_y 0
		.amdhsa_system_sgpr_workgroup_id_z 0
		.amdhsa_system_sgpr_workgroup_info 0
		.amdhsa_system_vgpr_workitem_id 0
		.amdhsa_next_free_vgpr 154
		.amdhsa_next_free_sgpr 26
		.amdhsa_reserve_vcc 1
		.amdhsa_float_round_mode_32 0
		.amdhsa_float_round_mode_16_64 0
		.amdhsa_float_denorm_mode_32 3
		.amdhsa_float_denorm_mode_16_64 3
		.amdhsa_fp16_overflow 0
		.amdhsa_workgroup_processor_mode 1
		.amdhsa_memory_ordered 1
		.amdhsa_forward_progress 0
		.amdhsa_round_robin_scheduling 0
		.amdhsa_exception_fp_ieee_invalid_op 0
		.amdhsa_exception_fp_denorm_src 0
		.amdhsa_exception_fp_ieee_div_zero 0
		.amdhsa_exception_fp_ieee_overflow 0
		.amdhsa_exception_fp_ieee_underflow 0
		.amdhsa_exception_fp_ieee_inexact 0
		.amdhsa_exception_int_div_zero 0
	.end_amdhsa_kernel
	.text
.Lfunc_end0:
	.size	fft_rtc_back_len125_factors_5_5_5_wgs_160_tpt_5_dim3_sp_op_CI_CI_sbcc_twdbase8_3step_dirReg_intrinsicReadWrite, .Lfunc_end0-fft_rtc_back_len125_factors_5_5_5_wgs_160_tpt_5_dim3_sp_op_CI_CI_sbcc_twdbase8_3step_dirReg_intrinsicReadWrite
                                        ; -- End function
	.section	.AMDGPU.csdata,"",@progbits
; Kernel info:
; codeLenInByte = 16864
; NumSgprs: 28
; NumVgprs: 154
; ScratchSize: 0
; MemoryBound: 0
; FloatMode: 240
; IeeeMode: 1
; LDSByteSize: 0 bytes/workgroup (compile time only)
; SGPRBlocks: 3
; VGPRBlocks: 19
; NumSGPRsForWavesPerEU: 28
; NumVGPRsForWavesPerEU: 154
; Occupancy: 9
; WaveLimiterHint : 1
; COMPUTE_PGM_RSRC2:SCRATCH_EN: 0
; COMPUTE_PGM_RSRC2:USER_SGPR: 2
; COMPUTE_PGM_RSRC2:TRAP_HANDLER: 0
; COMPUTE_PGM_RSRC2:TGID_X_EN: 1
; COMPUTE_PGM_RSRC2:TGID_Y_EN: 0
; COMPUTE_PGM_RSRC2:TGID_Z_EN: 0
; COMPUTE_PGM_RSRC2:TIDIG_COMP_CNT: 0
	.text
	.p2alignl 7, 3214868480
	.fill 96, 4, 3214868480
	.type	__hip_cuid_8619635d4454b8f6,@object ; @__hip_cuid_8619635d4454b8f6
	.section	.bss,"aw",@nobits
	.globl	__hip_cuid_8619635d4454b8f6
__hip_cuid_8619635d4454b8f6:
	.byte	0                               ; 0x0
	.size	__hip_cuid_8619635d4454b8f6, 1

	.ident	"AMD clang version 19.0.0git (https://github.com/RadeonOpenCompute/llvm-project roc-6.4.0 25133 c7fe45cf4b819c5991fe208aaa96edf142730f1d)"
	.section	".note.GNU-stack","",@progbits
	.addrsig
	.addrsig_sym __hip_cuid_8619635d4454b8f6
	.amdgpu_metadata
---
amdhsa.kernels:
  - .args:
      - .actual_access:  read_only
        .address_space:  global
        .offset:         0
        .size:           8
        .value_kind:     global_buffer
      - .address_space:  global
        .offset:         8
        .size:           8
        .value_kind:     global_buffer
      - .actual_access:  read_only
        .address_space:  global
        .offset:         16
        .size:           8
        .value_kind:     global_buffer
      - .actual_access:  read_only
        .address_space:  global
        .offset:         24
        .size:           8
        .value_kind:     global_buffer
      - .actual_access:  read_only
        .address_space:  global
        .offset:         32
        .size:           8
        .value_kind:     global_buffer
      - .offset:         40
        .size:           8
        .value_kind:     by_value
      - .actual_access:  read_only
        .address_space:  global
        .offset:         48
        .size:           8
        .value_kind:     global_buffer
      - .actual_access:  read_only
        .address_space:  global
        .offset:         56
        .size:           8
        .value_kind:     global_buffer
      - .offset:         64
        .size:           4
        .value_kind:     by_value
      - .actual_access:  read_only
        .address_space:  global
        .offset:         72
        .size:           8
        .value_kind:     global_buffer
      - .actual_access:  read_only
        .address_space:  global
        .offset:         80
        .size:           8
        .value_kind:     global_buffer
      - .actual_access:  read_only
        .address_space:  global
        .offset:         88
        .size:           8
        .value_kind:     global_buffer
      - .actual_access:  write_only
        .address_space:  global
        .offset:         96
        .size:           8
        .value_kind:     global_buffer
    .group_segment_fixed_size: 0
    .kernarg_segment_align: 8
    .kernarg_segment_size: 104
    .language:       OpenCL C
    .language_version:
      - 2
      - 0
    .max_flat_workgroup_size: 160
    .name:           fft_rtc_back_len125_factors_5_5_5_wgs_160_tpt_5_dim3_sp_op_CI_CI_sbcc_twdbase8_3step_dirReg_intrinsicReadWrite
    .private_segment_fixed_size: 0
    .sgpr_count:     28
    .sgpr_spill_count: 0
    .symbol:         fft_rtc_back_len125_factors_5_5_5_wgs_160_tpt_5_dim3_sp_op_CI_CI_sbcc_twdbase8_3step_dirReg_intrinsicReadWrite.kd
    .uniform_work_group_size: 1
    .uses_dynamic_stack: false
    .vgpr_count:     154
    .vgpr_spill_count: 0
    .wavefront_size: 32
    .workgroup_processor_mode: 1
amdhsa.target:   amdgcn-amd-amdhsa--gfx1201
amdhsa.version:
  - 1
  - 2
...

	.end_amdgpu_metadata
